;; amdgpu-corpus repo=ROCm/rocFFT kind=compiled arch=gfx1100 opt=O3
	.text
	.amdgcn_target "amdgcn-amd-amdhsa--gfx1100"
	.amdhsa_code_object_version 6
	.protected	fft_rtc_back_len3240_factors_3_3_10_6_6_wgs_108_tpt_108_halfLds_dp_ip_CI_unitstride_sbrr_R2C_dirReg ; -- Begin function fft_rtc_back_len3240_factors_3_3_10_6_6_wgs_108_tpt_108_halfLds_dp_ip_CI_unitstride_sbrr_R2C_dirReg
	.globl	fft_rtc_back_len3240_factors_3_3_10_6_6_wgs_108_tpt_108_halfLds_dp_ip_CI_unitstride_sbrr_R2C_dirReg
	.p2align	8
	.type	fft_rtc_back_len3240_factors_3_3_10_6_6_wgs_108_tpt_108_halfLds_dp_ip_CI_unitstride_sbrr_R2C_dirReg,@function
fft_rtc_back_len3240_factors_3_3_10_6_6_wgs_108_tpt_108_halfLds_dp_ip_CI_unitstride_sbrr_R2C_dirReg: ; @fft_rtc_back_len3240_factors_3_3_10_6_6_wgs_108_tpt_108_halfLds_dp_ip_CI_unitstride_sbrr_R2C_dirReg
; %bb.0:
	s_clause 0x2
	s_load_b128 s[4:7], s[0:1], 0x0
	s_load_b64 s[8:9], s[0:1], 0x50
	s_load_b64 s[10:11], s[0:1], 0x18
	v_mul_u32_u24_e32 v1, 0x25f, v0
	v_mov_b32_e32 v3, 0
	v_mov_b32_e32 v4, 0
	s_delay_alu instid0(VALU_DEP_3) | instskip(SKIP_1) | instid1(VALU_DEP_1)
	v_lshrrev_b32_e32 v2, 16, v1
	v_mov_b32_e32 v1, 0
	v_dual_mov_b32 v6, v1 :: v_dual_add_nc_u32 v5, s15, v2
	s_waitcnt lgkmcnt(0)
	v_cmp_lt_u64_e64 s2, s[6:7], 2
	s_delay_alu instid0(VALU_DEP_1)
	s_and_b32 vcc_lo, exec_lo, s2
	s_cbranch_vccnz .LBB0_8
; %bb.1:
	s_load_b64 s[2:3], s[0:1], 0x10
	v_mov_b32_e32 v3, 0
	s_add_u32 s12, s10, 8
	v_mov_b32_e32 v4, 0
	s_addc_u32 s13, s11, 0
	s_mov_b64 s[16:17], 1
	s_waitcnt lgkmcnt(0)
	s_add_u32 s14, s2, 8
	s_addc_u32 s15, s3, 0
.LBB0_2:                                ; =>This Inner Loop Header: Depth=1
	s_load_b64 s[18:19], s[14:15], 0x0
                                        ; implicit-def: $vgpr7_vgpr8
	s_mov_b32 s2, exec_lo
	s_waitcnt lgkmcnt(0)
	v_or_b32_e32 v2, s19, v6
	s_delay_alu instid0(VALU_DEP_1)
	v_cmpx_ne_u64_e32 0, v[1:2]
	s_xor_b32 s3, exec_lo, s2
	s_cbranch_execz .LBB0_4
; %bb.3:                                ;   in Loop: Header=BB0_2 Depth=1
	v_cvt_f32_u32_e32 v2, s18
	v_cvt_f32_u32_e32 v7, s19
	s_sub_u32 s2, 0, s18
	s_subb_u32 s20, 0, s19
	s_delay_alu instid0(VALU_DEP_1) | instskip(NEXT) | instid1(VALU_DEP_1)
	v_fmac_f32_e32 v2, 0x4f800000, v7
	v_rcp_f32_e32 v2, v2
	s_waitcnt_depctr 0xfff
	v_mul_f32_e32 v2, 0x5f7ffffc, v2
	s_delay_alu instid0(VALU_DEP_1) | instskip(NEXT) | instid1(VALU_DEP_1)
	v_mul_f32_e32 v7, 0x2f800000, v2
	v_trunc_f32_e32 v7, v7
	s_delay_alu instid0(VALU_DEP_1) | instskip(SKIP_1) | instid1(VALU_DEP_2)
	v_fmac_f32_e32 v2, 0xcf800000, v7
	v_cvt_u32_f32_e32 v7, v7
	v_cvt_u32_f32_e32 v2, v2
	s_delay_alu instid0(VALU_DEP_2) | instskip(NEXT) | instid1(VALU_DEP_2)
	v_mul_lo_u32 v8, s2, v7
	v_mul_hi_u32 v9, s2, v2
	v_mul_lo_u32 v10, s20, v2
	s_delay_alu instid0(VALU_DEP_2) | instskip(SKIP_1) | instid1(VALU_DEP_2)
	v_add_nc_u32_e32 v8, v9, v8
	v_mul_lo_u32 v9, s2, v2
	v_add_nc_u32_e32 v8, v8, v10
	s_delay_alu instid0(VALU_DEP_2) | instskip(NEXT) | instid1(VALU_DEP_2)
	v_mul_hi_u32 v10, v2, v9
	v_mul_lo_u32 v11, v2, v8
	v_mul_hi_u32 v12, v2, v8
	v_mul_hi_u32 v13, v7, v9
	v_mul_lo_u32 v9, v7, v9
	v_mul_hi_u32 v14, v7, v8
	v_mul_lo_u32 v8, v7, v8
	v_add_co_u32 v10, vcc_lo, v10, v11
	v_add_co_ci_u32_e32 v11, vcc_lo, 0, v12, vcc_lo
	s_delay_alu instid0(VALU_DEP_2) | instskip(NEXT) | instid1(VALU_DEP_2)
	v_add_co_u32 v9, vcc_lo, v10, v9
	v_add_co_ci_u32_e32 v9, vcc_lo, v11, v13, vcc_lo
	v_add_co_ci_u32_e32 v10, vcc_lo, 0, v14, vcc_lo
	s_delay_alu instid0(VALU_DEP_2) | instskip(NEXT) | instid1(VALU_DEP_2)
	v_add_co_u32 v8, vcc_lo, v9, v8
	v_add_co_ci_u32_e32 v9, vcc_lo, 0, v10, vcc_lo
	s_delay_alu instid0(VALU_DEP_2) | instskip(NEXT) | instid1(VALU_DEP_2)
	v_add_co_u32 v2, vcc_lo, v2, v8
	v_add_co_ci_u32_e32 v7, vcc_lo, v7, v9, vcc_lo
	s_delay_alu instid0(VALU_DEP_2) | instskip(SKIP_1) | instid1(VALU_DEP_3)
	v_mul_hi_u32 v8, s2, v2
	v_mul_lo_u32 v10, s20, v2
	v_mul_lo_u32 v9, s2, v7
	s_delay_alu instid0(VALU_DEP_1) | instskip(SKIP_1) | instid1(VALU_DEP_2)
	v_add_nc_u32_e32 v8, v8, v9
	v_mul_lo_u32 v9, s2, v2
	v_add_nc_u32_e32 v8, v8, v10
	s_delay_alu instid0(VALU_DEP_2) | instskip(NEXT) | instid1(VALU_DEP_2)
	v_mul_hi_u32 v10, v2, v9
	v_mul_lo_u32 v11, v2, v8
	v_mul_hi_u32 v12, v2, v8
	v_mul_hi_u32 v13, v7, v9
	v_mul_lo_u32 v9, v7, v9
	v_mul_hi_u32 v14, v7, v8
	v_mul_lo_u32 v8, v7, v8
	v_add_co_u32 v10, vcc_lo, v10, v11
	v_add_co_ci_u32_e32 v11, vcc_lo, 0, v12, vcc_lo
	s_delay_alu instid0(VALU_DEP_2) | instskip(NEXT) | instid1(VALU_DEP_2)
	v_add_co_u32 v9, vcc_lo, v10, v9
	v_add_co_ci_u32_e32 v9, vcc_lo, v11, v13, vcc_lo
	v_add_co_ci_u32_e32 v10, vcc_lo, 0, v14, vcc_lo
	s_delay_alu instid0(VALU_DEP_2) | instskip(NEXT) | instid1(VALU_DEP_2)
	v_add_co_u32 v8, vcc_lo, v9, v8
	v_add_co_ci_u32_e32 v9, vcc_lo, 0, v10, vcc_lo
	s_delay_alu instid0(VALU_DEP_2) | instskip(NEXT) | instid1(VALU_DEP_2)
	v_add_co_u32 v2, vcc_lo, v2, v8
	v_add_co_ci_u32_e32 v13, vcc_lo, v7, v9, vcc_lo
	s_delay_alu instid0(VALU_DEP_2) | instskip(SKIP_1) | instid1(VALU_DEP_3)
	v_mul_hi_u32 v14, v5, v2
	v_mad_u64_u32 v[9:10], null, v6, v2, 0
	v_mad_u64_u32 v[7:8], null, v5, v13, 0
	;; [unrolled: 1-line block ×3, first 2 shown]
	s_delay_alu instid0(VALU_DEP_2) | instskip(NEXT) | instid1(VALU_DEP_3)
	v_add_co_u32 v2, vcc_lo, v14, v7
	v_add_co_ci_u32_e32 v7, vcc_lo, 0, v8, vcc_lo
	s_delay_alu instid0(VALU_DEP_2) | instskip(NEXT) | instid1(VALU_DEP_2)
	v_add_co_u32 v2, vcc_lo, v2, v9
	v_add_co_ci_u32_e32 v2, vcc_lo, v7, v10, vcc_lo
	v_add_co_ci_u32_e32 v7, vcc_lo, 0, v12, vcc_lo
	s_delay_alu instid0(VALU_DEP_2) | instskip(NEXT) | instid1(VALU_DEP_2)
	v_add_co_u32 v2, vcc_lo, v2, v11
	v_add_co_ci_u32_e32 v9, vcc_lo, 0, v7, vcc_lo
	s_delay_alu instid0(VALU_DEP_2) | instskip(SKIP_1) | instid1(VALU_DEP_3)
	v_mul_lo_u32 v10, s19, v2
	v_mad_u64_u32 v[7:8], null, s18, v2, 0
	v_mul_lo_u32 v11, s18, v9
	s_delay_alu instid0(VALU_DEP_2) | instskip(NEXT) | instid1(VALU_DEP_2)
	v_sub_co_u32 v7, vcc_lo, v5, v7
	v_add3_u32 v8, v8, v11, v10
	s_delay_alu instid0(VALU_DEP_1) | instskip(NEXT) | instid1(VALU_DEP_1)
	v_sub_nc_u32_e32 v10, v6, v8
	v_subrev_co_ci_u32_e64 v10, s2, s19, v10, vcc_lo
	v_add_co_u32 v11, s2, v2, 2
	s_delay_alu instid0(VALU_DEP_1) | instskip(SKIP_3) | instid1(VALU_DEP_3)
	v_add_co_ci_u32_e64 v12, s2, 0, v9, s2
	v_sub_co_u32 v13, s2, v7, s18
	v_sub_co_ci_u32_e32 v8, vcc_lo, v6, v8, vcc_lo
	v_subrev_co_ci_u32_e64 v10, s2, 0, v10, s2
	v_cmp_le_u32_e32 vcc_lo, s18, v13
	s_delay_alu instid0(VALU_DEP_3) | instskip(SKIP_1) | instid1(VALU_DEP_4)
	v_cmp_eq_u32_e64 s2, s19, v8
	v_cndmask_b32_e64 v13, 0, -1, vcc_lo
	v_cmp_le_u32_e32 vcc_lo, s19, v10
	v_cndmask_b32_e64 v14, 0, -1, vcc_lo
	v_cmp_le_u32_e32 vcc_lo, s18, v7
	;; [unrolled: 2-line block ×3, first 2 shown]
	v_cndmask_b32_e64 v15, 0, -1, vcc_lo
	v_cmp_eq_u32_e32 vcc_lo, s19, v10
	s_delay_alu instid0(VALU_DEP_2) | instskip(SKIP_3) | instid1(VALU_DEP_3)
	v_cndmask_b32_e64 v7, v15, v7, s2
	v_cndmask_b32_e32 v10, v14, v13, vcc_lo
	v_add_co_u32 v13, vcc_lo, v2, 1
	v_add_co_ci_u32_e32 v14, vcc_lo, 0, v9, vcc_lo
	v_cmp_ne_u32_e32 vcc_lo, 0, v10
	s_delay_alu instid0(VALU_DEP_2) | instskip(NEXT) | instid1(VALU_DEP_4)
	v_cndmask_b32_e32 v8, v14, v12, vcc_lo
	v_cndmask_b32_e32 v10, v13, v11, vcc_lo
	v_cmp_ne_u32_e32 vcc_lo, 0, v7
	s_delay_alu instid0(VALU_DEP_2)
	v_dual_cndmask_b32 v7, v2, v10 :: v_dual_cndmask_b32 v8, v9, v8
.LBB0_4:                                ;   in Loop: Header=BB0_2 Depth=1
	s_and_not1_saveexec_b32 s2, s3
	s_cbranch_execz .LBB0_6
; %bb.5:                                ;   in Loop: Header=BB0_2 Depth=1
	v_cvt_f32_u32_e32 v2, s18
	s_sub_i32 s3, 0, s18
	s_delay_alu instid0(VALU_DEP_1) | instskip(SKIP_2) | instid1(VALU_DEP_1)
	v_rcp_iflag_f32_e32 v2, v2
	s_waitcnt_depctr 0xfff
	v_mul_f32_e32 v2, 0x4f7ffffe, v2
	v_cvt_u32_f32_e32 v2, v2
	s_delay_alu instid0(VALU_DEP_1) | instskip(NEXT) | instid1(VALU_DEP_1)
	v_mul_lo_u32 v7, s3, v2
	v_mul_hi_u32 v7, v2, v7
	s_delay_alu instid0(VALU_DEP_1) | instskip(NEXT) | instid1(VALU_DEP_1)
	v_add_nc_u32_e32 v2, v2, v7
	v_mul_hi_u32 v2, v5, v2
	s_delay_alu instid0(VALU_DEP_1) | instskip(SKIP_1) | instid1(VALU_DEP_2)
	v_mul_lo_u32 v7, v2, s18
	v_add_nc_u32_e32 v8, 1, v2
	v_sub_nc_u32_e32 v7, v5, v7
	s_delay_alu instid0(VALU_DEP_1) | instskip(SKIP_1) | instid1(VALU_DEP_2)
	v_subrev_nc_u32_e32 v9, s18, v7
	v_cmp_le_u32_e32 vcc_lo, s18, v7
	v_dual_cndmask_b32 v7, v7, v9 :: v_dual_cndmask_b32 v2, v2, v8
	s_delay_alu instid0(VALU_DEP_1) | instskip(NEXT) | instid1(VALU_DEP_2)
	v_cmp_le_u32_e32 vcc_lo, s18, v7
	v_add_nc_u32_e32 v8, 1, v2
	s_delay_alu instid0(VALU_DEP_1)
	v_dual_cndmask_b32 v7, v2, v8 :: v_dual_mov_b32 v8, v1
.LBB0_6:                                ;   in Loop: Header=BB0_2 Depth=1
	s_or_b32 exec_lo, exec_lo, s2
	s_load_b64 s[2:3], s[12:13], 0x0
	s_delay_alu instid0(VALU_DEP_1) | instskip(NEXT) | instid1(VALU_DEP_2)
	v_mul_lo_u32 v2, v8, s18
	v_mul_lo_u32 v11, v7, s19
	v_mad_u64_u32 v[9:10], null, v7, s18, 0
	s_add_u32 s16, s16, 1
	s_addc_u32 s17, s17, 0
	s_add_u32 s12, s12, 8
	s_addc_u32 s13, s13, 0
	;; [unrolled: 2-line block ×3, first 2 shown]
	s_delay_alu instid0(VALU_DEP_1) | instskip(SKIP_1) | instid1(VALU_DEP_2)
	v_add3_u32 v2, v10, v11, v2
	v_sub_co_u32 v9, vcc_lo, v5, v9
	v_sub_co_ci_u32_e32 v2, vcc_lo, v6, v2, vcc_lo
	s_waitcnt lgkmcnt(0)
	s_delay_alu instid0(VALU_DEP_2) | instskip(NEXT) | instid1(VALU_DEP_2)
	v_mul_lo_u32 v10, s3, v9
	v_mul_lo_u32 v2, s2, v2
	v_mad_u64_u32 v[5:6], null, s2, v9, v[3:4]
	v_cmp_ge_u64_e64 s2, s[16:17], s[6:7]
	s_delay_alu instid0(VALU_DEP_1) | instskip(NEXT) | instid1(VALU_DEP_2)
	s_and_b32 vcc_lo, exec_lo, s2
	v_add3_u32 v4, v10, v6, v2
	s_delay_alu instid0(VALU_DEP_3)
	v_mov_b32_e32 v3, v5
	s_cbranch_vccnz .LBB0_9
; %bb.7:                                ;   in Loop: Header=BB0_2 Depth=1
	v_dual_mov_b32 v5, v7 :: v_dual_mov_b32 v6, v8
	s_branch .LBB0_2
.LBB0_8:
	v_dual_mov_b32 v8, v6 :: v_dual_mov_b32 v7, v5
.LBB0_9:
	s_lshl_b64 s[2:3], s[6:7], 3
	v_mul_hi_u32 v1, 0x25ed098, v0
	s_add_u32 s2, s10, s2
	s_addc_u32 s3, s11, s3
	s_load_b64 s[0:1], s[0:1], 0x20
	s_load_b64 s[2:3], s[2:3], 0x0
	s_delay_alu instid0(VALU_DEP_1) | instskip(NEXT) | instid1(VALU_DEP_1)
	v_mul_u32_u24_e32 v1, 0x6c, v1
	v_sub_nc_u32_e32 v48, v0, v1
	s_delay_alu instid0(VALU_DEP_1)
	v_add_nc_u32_e32 v50, 0x6c, v48
	v_add_nc_u32_e32 v61, 0xd8, v48
	;; [unrolled: 1-line block ×5, first 2 shown]
	s_waitcnt lgkmcnt(0)
	v_cmp_gt_u64_e32 vcc_lo, s[0:1], v[7:8]
	v_mul_lo_u32 v2, s2, v8
	v_mul_lo_u32 v5, s3, v7
	v_mad_u64_u32 v[0:1], null, s2, v7, v[3:4]
	v_cmp_le_u64_e64 s0, s[0:1], v[7:8]
	v_add_nc_u32_e32 v57, 0x288, v48
	v_add_nc_u32_e32 v56, 0x2f4, v48
	;; [unrolled: 1-line block ×4, first 2 shown]
	v_add3_u32 v1, v5, v1, v2
	s_and_saveexec_b32 s1, s0
	s_delay_alu instid0(SALU_CYCLE_1)
	s_xor_b32 s0, exec_lo, s1
; %bb.10:
	v_add_nc_u32_e32 v50, 0x6c, v48
	v_add_nc_u32_e32 v61, 0xd8, v48
	;; [unrolled: 1-line block ×9, first 2 shown]
; %bb.11:
	s_or_saveexec_b32 s1, s0
	v_lshlrev_b64 v[52:53], 4, v[0:1]
	s_xor_b32 exec_lo, exec_lo, s1
	s_cbranch_execz .LBB0_13
; %bb.12:
	v_mov_b32_e32 v49, 0
	s_delay_alu instid0(VALU_DEP_2) | instskip(NEXT) | instid1(VALU_DEP_1)
	v_add_co_u32 v2, s0, s8, v52
	v_add_co_ci_u32_e64 v3, s0, s9, v53, s0
	s_delay_alu instid0(VALU_DEP_3) | instskip(SKIP_1) | instid1(VALU_DEP_2)
	v_lshlrev_b64 v[0:1], 4, v[48:49]
	v_lshl_add_u32 v49, v48, 4, 0
	v_add_co_u32 v126, s0, v2, v0
	s_delay_alu instid0(VALU_DEP_1) | instskip(NEXT) | instid1(VALU_DEP_2)
	v_add_co_ci_u32_e64 v127, s0, v3, v1, s0
	v_add_co_u32 v12, s0, 0x1000, v126
	s_delay_alu instid0(VALU_DEP_1) | instskip(SKIP_1) | instid1(VALU_DEP_1)
	v_add_co_ci_u32_e64 v13, s0, 0, v127, s0
	v_add_co_u32 v24, s0, 0x2000, v126
	v_add_co_ci_u32_e64 v25, s0, 0, v127, s0
	v_add_co_u32 v32, s0, 0x3000, v126
	s_delay_alu instid0(VALU_DEP_1) | instskip(SKIP_1) | instid1(VALU_DEP_1)
	v_add_co_ci_u32_e64 v33, s0, 0, v127, s0
	v_add_co_u32 v40, s0, 0x4000, v126
	;; [unrolled: 5-line block ×6, first 2 shown]
	v_add_co_ci_u32_e64 v131, s0, 0, v127, s0
	s_clause 0x1d
	global_load_b128 v[0:3], v[126:127], off offset:1728
	global_load_b128 v[4:7], v[126:127], off offset:3456
	;; [unrolled: 1-line block ×28, first 2 shown]
	global_load_b128 v[126:129], v[126:127], off
	global_load_b128 v[130:133], v[130:131], off offset:960
	s_waitcnt vmcnt(29)
	ds_store_b128 v49, v[0:3] offset:1728
	s_waitcnt vmcnt(28)
	ds_store_b128 v49, v[4:7] offset:3456
	;; [unrolled: 2-line block ×28, first 2 shown]
	s_waitcnt vmcnt(1)
	ds_store_b128 v49, v[126:129]
	s_waitcnt vmcnt(0)
	ds_store_b128 v49, v[130:133] offset:50112
.LBB0_13:
	s_or_b32 exec_lo, exec_lo, s1
	v_lshlrev_b32_e32 v49, 4, v48
	s_waitcnt lgkmcnt(0)
	s_barrier
	buffer_gl0_inv
	s_mov_b32 s6, 0xe8584caa
	v_add_nc_u32_e32 v168, 0, v49
	s_mov_b32 s7, 0xbfebb67a
	s_mov_b32 s3, 0x3febb67a
	;; [unrolled: 1-line block ×3, first 2 shown]
	v_mad_u32_u24 v51, v48, 48, 0
	ds_load_b128 v[4:7], v168
	ds_load_b128 v[8:11], v168 offset:17280
	ds_load_b128 v[0:3], v168 offset:15552
	;; [unrolled: 1-line block ×5, first 2 shown]
	v_and_b32_e32 v186, 0xff, v50
	v_and_b32_e32 v185, 0xffff, v61
	;; [unrolled: 1-line block ×4, first 2 shown]
	s_mov_b32 s12, 0x134454ff
	s_mov_b32 s13, 0xbfee6f0e
	;; [unrolled: 1-line block ×12, first 2 shown]
	s_waitcnt lgkmcnt(4)
	v_add_f64 v[16:17], v[4:5], v[8:9]
	v_add_f64 v[18:19], v[6:7], v[10:11]
	s_waitcnt lgkmcnt(1)
	v_add_f64 v[142:143], v[8:9], v[12:13]
	v_add_f64 v[144:145], v[10:11], -v[14:15]
	v_add_f64 v[146:147], v[10:11], v[14:15]
	v_add_f64 v[148:149], v[8:9], -v[12:13]
	s_mov_b32 s21, 0xbfd3c6ef
	s_mov_b32 s20, s16
	;; [unrolled: 1-line block ×4, first 2 shown]
	v_add_f64 v[102:103], v[16:17], v[12:13]
	v_add_f64 v[104:105], v[18:19], v[14:15]
	ds_load_b128 v[8:11], v168 offset:19008
	ds_load_b128 v[106:109], v168 offset:1728
	ds_load_b128 v[110:113], v168 offset:3456
	ds_load_b128 v[12:15], v168 offset:20736
	ds_load_b128 v[16:19], v168 offset:36288
	ds_load_b128 v[20:23], v168 offset:38016
	s_waitcnt lgkmcnt(4)
	v_add_f64 v[24:25], v[106:107], v[8:9]
	v_add_f64 v[26:27], v[108:109], v[10:11]
	s_waitcnt lgkmcnt(1)
	v_add_f64 v[150:151], v[8:9], v[16:17]
	v_add_f64 v[152:153], v[10:11], -v[18:19]
	v_add_f64 v[154:155], v[10:11], v[18:19]
	v_add_f64 v[156:157], v[8:9], -v[16:17]
	v_add_f64 v[8:9], v[110:111], v[12:13]
	v_add_f64 v[10:11], v[112:113], v[14:15]
	s_waitcnt lgkmcnt(0)
	v_add_f64 v[158:159], v[12:13], v[20:21]
	v_add_f64 v[160:161], v[14:15], -v[22:23]
	v_add_f64 v[162:163], v[14:15], v[22:23]
	v_add_f64 v[164:165], v[12:13], -v[20:21]
	v_add_f64 v[114:115], v[24:25], v[16:17]
	v_add_f64 v[116:117], v[26:27], v[18:19]
	v_add_f64 v[118:119], v[8:9], v[20:21]
	v_add_f64 v[120:121], v[10:11], v[22:23]
	ds_load_b128 v[8:11], v168 offset:22464
	ds_load_b128 v[122:125], v168 offset:5184
	ds_load_b128 v[126:129], v168 offset:6912
	ds_load_b128 v[12:15], v168 offset:24192
	ds_load_b128 v[16:19], v168 offset:39744
	ds_load_b128 v[20:23], v168 offset:41472
	s_waitcnt lgkmcnt(4)
	v_add_f64 v[24:25], v[122:123], v[8:9]
	v_add_f64 v[26:27], v[124:125], v[10:11]
	s_waitcnt lgkmcnt(1)
	v_add_f64 v[166:167], v[8:9], v[16:17]
	v_add_f64 v[169:170], v[10:11], -v[18:19]
	v_add_f64 v[171:172], v[10:11], v[18:19]
	v_add_f64 v[173:174], v[8:9], -v[16:17]
	v_add_f64 v[8:9], v[126:127], v[12:13]
	v_add_f64 v[10:11], v[128:129], v[14:15]
	s_waitcnt lgkmcnt(0)
	v_add_f64 v[175:176], v[12:13], v[20:21]
	v_add_f64 v[177:178], v[14:15], -v[22:23]
	v_add_f64 v[179:180], v[14:15], v[22:23]
	v_add_f64 v[181:182], v[12:13], -v[20:21]
	v_add_f64 v[130:131], v[24:25], v[16:17]
	v_add_f64 v[132:133], v[26:27], v[18:19]
	;; [unrolled: 25-line block ×3, first 2 shown]
	v_add_f64 v[24:25], v[20:21], v[32:33]
	v_add_f64 v[26:27], v[22:23], v[34:35]
	ds_load_b128 v[36:39], v168 offset:29376
	ds_load_b128 v[32:35], v168 offset:12096
	;; [unrolled: 1-line block ×6, first 2 shown]
	s_waitcnt lgkmcnt(0)
	s_barrier
	buffer_gl0_inv
	v_add_f64 v[20:21], v[32:33], v[36:37]
	v_add_f64 v[22:23], v[34:35], v[38:39]
	;; [unrolled: 1-line block ×3, first 2 shown]
	v_add_f64 v[78:79], v[38:39], -v[42:43]
	v_add_f64 v[84:85], v[38:39], v[42:43]
	v_add_f64 v[80:81], v[36:37], -v[40:41]
	v_add_f64 v[36:37], v[28:29], v[94:95]
	v_add_f64 v[38:39], v[30:31], v[96:97]
	;; [unrolled: 1-line block ×4, first 2 shown]
	v_add_f64 v[86:87], v[96:97], -v[140:141]
	v_add_f64 v[88:89], v[94:95], -v[138:139]
	v_add_f64 v[94:95], v[98:99], v[44:45]
	v_add_f64 v[96:97], v[100:101], v[46:47]
	;; [unrolled: 1-line block ×4, first 2 shown]
	v_fma_f64 v[32:33], v[82:83], -0.5, v[32:33]
	v_fma_f64 v[34:35], v[84:85], -0.5, v[34:35]
	v_add_f64 v[40:41], v[36:37], v[138:139]
	v_add_f64 v[42:43], v[38:39], v[140:141]
	;; [unrolled: 1-line block ×4, first 2 shown]
	s_delay_alu instid0(VALU_DEP_2) | instskip(NEXT) | instid1(VALU_DEP_2)
	v_add_f64 v[36:37], v[36:37], v[44:45]
	v_add_f64 v[38:39], v[38:39], v[46:47]
	v_add_f64 v[46:47], v[100:101], -v[46:47]
	v_add_f64 v[44:45], v[98:99], -v[44:45]
	v_fma_f64 v[98:99], v[142:143], -0.5, v[4:5]
	v_fma_f64 v[100:101], v[146:147], -0.5, v[6:7]
	s_delay_alu instid0(VALU_DEP_2) | instskip(NEXT) | instid1(VALU_DEP_2)
	v_fma_f64 v[4:5], v[144:145], s[6:7], v[98:99]
	v_fma_f64 v[6:7], v[148:149], s[2:3], v[100:101]
	;; [unrolled: 1-line block ×4, first 2 shown]
	ds_store_b128 v51, v[102:105]
	ds_store_b128 v51, v[4:7] offset:16
	ds_store_b128 v51, v[98:101] offset:32
	v_fma_f64 v[98:99], v[150:151], -0.5, v[106:107]
	v_fma_f64 v[100:101], v[154:155], -0.5, v[108:109]
	v_mad_i32_i24 v51, v50, 48, 0
	s_delay_alu instid0(VALU_DEP_3) | instskip(NEXT) | instid1(VALU_DEP_3)
	v_fma_f64 v[4:5], v[152:153], s[6:7], v[98:99]
	v_fma_f64 v[6:7], v[156:157], s[2:3], v[100:101]
	;; [unrolled: 1-line block ×4, first 2 shown]
	ds_store_b128 v51, v[114:117]
	ds_store_b128 v51, v[4:7] offset:16
	ds_store_b128 v51, v[98:101] offset:32
	v_fma_f64 v[6:7], v[158:159], -0.5, v[110:111]
	v_fma_f64 v[100:101], v[162:163], -0.5, v[112:113]
	v_mad_i32_i24 v51, v61, 48, 0
	s_delay_alu instid0(VALU_DEP_3) | instskip(SKIP_1) | instid1(VALU_DEP_4)
	v_fma_f64 v[4:5], v[160:161], s[6:7], v[6:7]
	v_fma_f64 v[98:99], v[160:161], s[2:3], v[6:7]
	;; [unrolled: 1-line block ×4, first 2 shown]
	ds_store_b128 v51, v[118:121]
	ds_store_b128 v51, v[4:7] offset:16
	ds_store_b128 v51, v[98:101] offset:32
	v_fma_f64 v[6:7], v[166:167], -0.5, v[122:123]
	v_fma_f64 v[100:101], v[171:172], -0.5, v[124:125]
	v_mad_i32_i24 v51, v60, 48, 0
	v_and_b32_e32 v124, 0xff, v48
	v_mad_i32_i24 v172, v57, 48, 0
	v_mad_i32_i24 v171, v56, 48, 0
	v_fma_f64 v[4:5], v[169:170], s[6:7], v[6:7]
	v_fma_f64 v[98:99], v[169:170], s[2:3], v[6:7]
	;; [unrolled: 1-line block ×4, first 2 shown]
	ds_store_b128 v51, v[130:133]
	ds_store_b128 v51, v[4:7] offset:16
	ds_store_b128 v51, v[98:101] offset:32
	v_fma_f64 v[6:7], v[175:176], -0.5, v[126:127]
	v_fma_f64 v[100:101], v[179:180], -0.5, v[128:129]
	v_mad_i32_i24 v51, v59, 48, 0
	v_mad_i32_i24 v173, v58, 48, 0
	v_mad_i32_i24 v170, v55, 48, 0
	v_mad_i32_i24 v169, v54, 48, 0
	v_lshl_add_u32 v174, v50, 4, 0
	v_lshlrev_b32_e32 v180, 5, v57
	v_lshlrev_b32_e32 v179, 5, v54
	v_lshl_add_u32 v176, v60, 4, 0
	v_lshl_add_u32 v175, v59, 4, 0
	s_delay_alu instid0(VALU_DEP_4) | instskip(NEXT) | instid1(VALU_DEP_4)
	v_sub_nc_u32_e32 v122, v172, v180
	v_sub_nc_u32_e32 v123, v169, v179
	v_fma_f64 v[4:5], v[177:178], s[6:7], v[6:7]
	v_fma_f64 v[98:99], v[177:178], s[2:3], v[6:7]
	;; [unrolled: 1-line block ×4, first 2 shown]
	ds_store_b128 v51, v[134:137]
	ds_store_b128 v51, v[4:7] offset:16
	ds_store_b128 v51, v[98:101] offset:32
	v_fma_f64 v[4:5], v[70:71], -0.5, v[16:17]
	v_fma_f64 v[6:7], v[72:73], -0.5, v[18:19]
	;; [unrolled: 1-line block ×8, first 2 shown]
	v_fma_f64 v[28:29], v[78:79], s[6:7], v[32:33]
	v_fma_f64 v[30:31], v[80:81], s[2:3], v[34:35]
	;; [unrolled: 1-line block ×4, first 2 shown]
	v_lshlrev_b32_e32 v51, 5, v56
	v_lshlrev_b32_e32 v178, 5, v55
	;; [unrolled: 1-line block ×3, first 2 shown]
	v_lshl_add_u32 v177, v61, 4, 0
	s_delay_alu instid0(VALU_DEP_2)
	v_sub_nc_u32_e32 v182, v173, v181
	v_fma_f64 v[0:1], v[62:63], s[6:7], v[4:5]
	v_fma_f64 v[2:3], v[64:65], s[2:3], v[6:7]
	v_fma_f64 v[4:5], v[62:63], s[2:3], v[4:5]
	v_fma_f64 v[6:7], v[64:65], s[6:7], v[6:7]
	v_fma_f64 v[12:13], v[66:67], s[6:7], v[16:17]
	v_fma_f64 v[14:15], v[68:69], s[2:3], v[18:19]
	v_fma_f64 v[16:17], v[66:67], s[2:3], v[16:17]
	v_fma_f64 v[18:19], v[68:69], s[6:7], v[18:19]
	v_fma_f64 v[62:63], v[86:87], s[6:7], v[70:71]
	v_fma_f64 v[64:65], v[88:89], s[2:3], v[72:73]
	v_fma_f64 v[66:67], v[86:87], s[2:3], v[70:71]
	v_fma_f64 v[68:69], v[88:89], s[6:7], v[72:73]
	v_fma_f64 v[70:71], v[46:47], s[6:7], v[74:75]
	v_fma_f64 v[74:75], v[46:47], s[2:3], v[74:75]
	v_fma_f64 v[72:73], v[44:45], s[2:3], v[76:77]
	v_fma_f64 v[76:77], v[44:45], s[6:7], v[76:77]
	ds_store_b128 v173, v[8:11]
	ds_store_b128 v173, v[0:3] offset:16
	ds_store_b128 v173, v[4:7] offset:32
	v_mul_lo_u16 v0, 0xab, v124
	ds_store_b128 v172, v[24:27]
	ds_store_b128 v172, v[12:15] offset:16
	ds_store_b128 v172, v[16:19] offset:32
	ds_store_b128 v171, v[20:23]
	ds_store_b128 v171, v[28:31] offset:16
	ds_store_b128 v171, v[32:35] offset:32
	v_lshrrev_b16 v16, 9, v0
	ds_store_b128 v170, v[40:43]
	ds_store_b128 v170, v[62:65] offset:16
	ds_store_b128 v170, v[66:69] offset:32
	v_mul_lo_u16 v0, v16, 3
	ds_store_b128 v169, v[36:39]
	ds_store_b128 v169, v[70:73] offset:16
	ds_store_b128 v169, v[74:77] offset:32
	s_waitcnt lgkmcnt(0)
	v_sub_nc_u16 v0, v48, v0
	s_barrier
	buffer_gl0_inv
	v_and_b32_e32 v17, 0xff, v0
	s_delay_alu instid0(VALU_DEP_1)
	v_lshlrev_b32_e32 v4, 5, v17
	s_clause 0x1
	global_load_b128 v[0:3], v4, s[4:5]
	global_load_b128 v[18:21], v4, s[4:5] offset:16
	ds_load_b128 v[4:7], v168 offset:17280
	ds_load_b128 v[22:25], v168 offset:19008
	s_waitcnt vmcnt(1) lgkmcnt(1)
	v_mul_f64 v[8:9], v[6:7], v[2:3]
	v_mul_f64 v[2:3], v[4:5], v[2:3]
	s_delay_alu instid0(VALU_DEP_2) | instskip(NEXT) | instid1(VALU_DEP_2)
	v_fma_f64 v[8:9], v[4:5], v[0:1], v[8:9]
	v_fma_f64 v[10:11], v[6:7], v[0:1], -v[2:3]
	ds_load_b128 v[0:3], v168 offset:34560
	ds_load_b128 v[4:7], v168 offset:32832
	s_waitcnt vmcnt(0) lgkmcnt(1)
	v_mul_f64 v[12:13], v[2:3], v[20:21]
	s_delay_alu instid0(VALU_DEP_1) | instskip(SKIP_1) | instid1(VALU_DEP_1)
	v_fma_f64 v[12:13], v[0:1], v[18:19], v[12:13]
	v_mul_f64 v[0:1], v[0:1], v[20:21]
	v_fma_f64 v[14:15], v[2:3], v[18:19], -v[0:1]
	v_mul_lo_u16 v0, 0xab, v186
	s_delay_alu instid0(VALU_DEP_1) | instskip(NEXT) | instid1(VALU_DEP_1)
	v_lshrrev_b16 v134, 9, v0
	v_mul_lo_u16 v0, v134, 3
	s_delay_alu instid0(VALU_DEP_1) | instskip(NEXT) | instid1(VALU_DEP_1)
	v_sub_nc_u16 v0, v50, v0
	v_and_b32_e32 v136, 0xff, v0
	s_delay_alu instid0(VALU_DEP_1)
	v_lshlrev_b32_e32 v18, 5, v136
	s_clause 0x1
	global_load_b128 v[0:3], v18, s[4:5]
	global_load_b128 v[18:21], v18, s[4:5] offset:16
	s_waitcnt vmcnt(1)
	v_mul_f64 v[26:27], v[24:25], v[2:3]
	v_mul_f64 v[2:3], v[22:23], v[2:3]
	s_delay_alu instid0(VALU_DEP_2) | instskip(NEXT) | instid1(VALU_DEP_2)
	v_fma_f64 v[42:43], v[22:23], v[0:1], v[26:27]
	v_fma_f64 v[76:77], v[24:25], v[0:1], -v[2:3]
	ds_load_b128 v[0:3], v168 offset:36288
	ds_load_b128 v[22:25], v168 offset:38016
	s_waitcnt vmcnt(0) lgkmcnt(1)
	v_mul_f64 v[26:27], v[2:3], v[20:21]
	s_delay_alu instid0(VALU_DEP_1) | instskip(SKIP_1) | instid1(VALU_DEP_1)
	v_fma_f64 v[80:81], v[0:1], v[18:19], v[26:27]
	v_mul_f64 v[0:1], v[0:1], v[20:21]
	v_fma_f64 v[94:95], v[2:3], v[18:19], -v[0:1]
	v_mul_u32_u24_e32 v0, 0xaaab, v185
	s_delay_alu instid0(VALU_DEP_1) | instskip(NEXT) | instid1(VALU_DEP_1)
	v_lshrrev_b32_e32 v130, 17, v0
	v_mul_lo_u16 v0, v130, 3
	s_delay_alu instid0(VALU_DEP_1) | instskip(NEXT) | instid1(VALU_DEP_1)
	v_sub_nc_u16 v0, v61, v0
	v_and_b32_e32 v135, 0xffff, v0
	s_delay_alu instid0(VALU_DEP_1)
	v_lshlrev_b32_e32 v18, 5, v135
	s_clause 0x1
	global_load_b128 v[0:3], v18, s[4:5]
	global_load_b128 v[18:21], v18, s[4:5] offset:16
	ds_load_b128 v[26:29], v168 offset:20736
	ds_load_b128 v[30:33], v168 offset:22464
	s_waitcnt vmcnt(1) lgkmcnt(1)
	v_mul_f64 v[34:35], v[28:29], v[2:3]
	v_mul_f64 v[2:3], v[26:27], v[2:3]
	s_delay_alu instid0(VALU_DEP_2) | instskip(NEXT) | instid1(VALU_DEP_2)
	v_fma_f64 v[44:45], v[26:27], v[0:1], v[34:35]
	v_fma_f64 v[78:79], v[28:29], v[0:1], -v[2:3]
	s_waitcnt vmcnt(0)
	v_mul_f64 v[0:1], v[24:25], v[20:21]
	s_delay_alu instid0(VALU_DEP_1) | instskip(SKIP_1) | instid1(VALU_DEP_1)
	v_fma_f64 v[74:75], v[22:23], v[18:19], v[0:1]
	v_mul_f64 v[0:1], v[22:23], v[20:21]
	v_fma_f64 v[90:91], v[24:25], v[18:19], -v[0:1]
	v_mul_u32_u24_e32 v0, 0xaaab, v184
	s_delay_alu instid0(VALU_DEP_1) | instskip(NEXT) | instid1(VALU_DEP_1)
	v_lshrrev_b32_e32 v128, 17, v0
	v_mul_lo_u16 v0, v128, 3
	s_delay_alu instid0(VALU_DEP_1) | instskip(NEXT) | instid1(VALU_DEP_1)
	v_sub_nc_u16 v0, v60, v0
	v_and_b32_e32 v133, 0xffff, v0
	s_delay_alu instid0(VALU_DEP_1)
	v_lshlrev_b32_e32 v18, 5, v133
	s_clause 0x1
	global_load_b128 v[0:3], v18, s[4:5]
	global_load_b128 v[18:21], v18, s[4:5] offset:16
	s_waitcnt vmcnt(1) lgkmcnt(0)
	v_mul_f64 v[22:23], v[32:33], v[2:3]
	v_mul_f64 v[2:3], v[30:31], v[2:3]
	s_delay_alu instid0(VALU_DEP_2) | instskip(NEXT) | instid1(VALU_DEP_2)
	v_fma_f64 v[38:39], v[30:31], v[0:1], v[22:23]
	v_fma_f64 v[64:65], v[32:33], v[0:1], -v[2:3]
	ds_load_b128 v[0:3], v168 offset:39744
	ds_load_b128 v[22:25], v168 offset:41472
	s_waitcnt vmcnt(0) lgkmcnt(1)
	v_mul_f64 v[26:27], v[2:3], v[20:21]
	s_delay_alu instid0(VALU_DEP_1) | instskip(SKIP_1) | instid1(VALU_DEP_1)
	v_fma_f64 v[68:69], v[0:1], v[18:19], v[26:27]
	v_mul_f64 v[0:1], v[0:1], v[20:21]
	v_fma_f64 v[86:87], v[2:3], v[18:19], -v[0:1]
	v_mul_u32_u24_e32 v0, 0xaaab, v183
	s_delay_alu instid0(VALU_DEP_1) | instskip(NEXT) | instid1(VALU_DEP_1)
	v_lshrrev_b32_e32 v126, 17, v0
	v_mul_lo_u16 v0, v126, 3
	s_delay_alu instid0(VALU_DEP_1) | instskip(NEXT) | instid1(VALU_DEP_1)
	v_sub_nc_u16 v0, v59, v0
	v_and_b32_e32 v131, 0xffff, v0
	s_delay_alu instid0(VALU_DEP_1)
	v_lshlrev_b32_e32 v18, 5, v131
	s_clause 0x1
	global_load_b128 v[0:3], v18, s[4:5]
	global_load_b128 v[18:21], v18, s[4:5] offset:16
	ds_load_b128 v[26:29], v168 offset:24192
	ds_load_b128 v[30:33], v168 offset:25920
	s_waitcnt vmcnt(1) lgkmcnt(1)
	v_mul_f64 v[34:35], v[28:29], v[2:3]
	v_mul_f64 v[2:3], v[26:27], v[2:3]
	s_delay_alu instid0(VALU_DEP_2) | instskip(NEXT) | instid1(VALU_DEP_2)
	v_fma_f64 v[40:41], v[26:27], v[0:1], v[34:35]
	v_fma_f64 v[70:71], v[28:29], v[0:1], -v[2:3]
	s_waitcnt vmcnt(0)
	v_mul_f64 v[0:1], v[24:25], v[20:21]
	s_delay_alu instid0(VALU_DEP_1) | instskip(SKIP_1) | instid1(VALU_DEP_1)
	v_fma_f64 v[66:67], v[22:23], v[18:19], v[0:1]
	v_mul_f64 v[0:1], v[22:23], v[20:21]
	v_fma_f64 v[82:83], v[24:25], v[18:19], -v[0:1]
	v_and_b32_e32 v0, 0xffff, v58
	s_delay_alu instid0(VALU_DEP_1) | instskip(NEXT) | instid1(VALU_DEP_1)
	v_mul_u32_u24_e32 v0, 0xaaab, v0
	v_lshrrev_b32_e32 v125, 17, v0
	s_delay_alu instid0(VALU_DEP_1) | instskip(NEXT) | instid1(VALU_DEP_1)
	v_mul_lo_u16 v0, v125, 3
	v_sub_nc_u16 v0, v58, v0
	s_delay_alu instid0(VALU_DEP_1) | instskip(NEXT) | instid1(VALU_DEP_1)
	v_and_b32_e32 v129, 0xffff, v0
	v_lshlrev_b32_e32 v18, 5, v129
	s_clause 0x1
	global_load_b128 v[0:3], v18, s[4:5]
	global_load_b128 v[18:21], v18, s[4:5] offset:16
	s_waitcnt vmcnt(1) lgkmcnt(0)
	v_mul_f64 v[22:23], v[32:33], v[2:3]
	v_mul_f64 v[2:3], v[30:31], v[2:3]
	s_delay_alu instid0(VALU_DEP_2) | instskip(NEXT) | instid1(VALU_DEP_2)
	v_fma_f64 v[36:37], v[30:31], v[0:1], v[22:23]
	v_fma_f64 v[46:47], v[32:33], v[0:1], -v[2:3]
	ds_load_b128 v[0:3], v168 offset:43200
	ds_load_b128 v[22:25], v168 offset:44928
	s_waitcnt vmcnt(0) lgkmcnt(1)
	v_mul_f64 v[26:27], v[2:3], v[20:21]
	s_delay_alu instid0(VALU_DEP_1) | instskip(SKIP_1) | instid1(VALU_DEP_1)
	v_fma_f64 v[72:73], v[0:1], v[18:19], v[26:27]
	v_mul_f64 v[0:1], v[0:1], v[20:21]
	v_fma_f64 v[88:89], v[2:3], v[18:19], -v[0:1]
	v_and_b32_e32 v0, 0xffff, v57
	s_delay_alu instid0(VALU_DEP_1) | instskip(NEXT) | instid1(VALU_DEP_1)
	v_mul_u32_u24_e32 v0, 0xaaab, v0
	v_lshrrev_b32_e32 v127, 17, v0
	s_delay_alu instid0(VALU_DEP_1) | instskip(NEXT) | instid1(VALU_DEP_1)
	v_mul_lo_u16 v0, v127, 3
	v_sub_nc_u16 v0, v57, v0
	s_delay_alu instid0(VALU_DEP_1) | instskip(NEXT) | instid1(VALU_DEP_1)
	v_and_b32_e32 v132, 0xffff, v0
	v_lshlrev_b32_e32 v18, 5, v132
	s_clause 0x1
	global_load_b128 v[0:3], v18, s[4:5]
	global_load_b128 v[18:21], v18, s[4:5] offset:16
	ds_load_b128 v[26:29], v168 offset:27648
	ds_load_b128 v[30:33], v168 offset:29376
	s_waitcnt vmcnt(1) lgkmcnt(1)
	v_mul_f64 v[34:35], v[28:29], v[2:3]
	v_mul_f64 v[2:3], v[26:27], v[2:3]
	s_delay_alu instid0(VALU_DEP_2) | instskip(NEXT) | instid1(VALU_DEP_2)
	v_fma_f64 v[62:63], v[26:27], v[0:1], v[34:35]
	v_fma_f64 v[84:85], v[28:29], v[0:1], -v[2:3]
	s_waitcnt vmcnt(0)
	v_mul_f64 v[0:1], v[24:25], v[20:21]
	s_delay_alu instid0(VALU_DEP_1) | instskip(SKIP_1) | instid1(VALU_DEP_1)
	v_fma_f64 v[92:93], v[22:23], v[18:19], v[0:1]
	v_mul_f64 v[0:1], v[22:23], v[20:21]
	v_fma_f64 v[96:97], v[24:25], v[18:19], -v[0:1]
	v_and_b32_e32 v0, 0xffff, v56
	s_delay_alu instid0(VALU_DEP_1) | instskip(NEXT) | instid1(VALU_DEP_1)
	v_mul_u32_u24_e32 v0, 0xaaab, v0
	v_lshrrev_b32_e32 v137, 17, v0
	s_delay_alu instid0(VALU_DEP_1) | instskip(NEXT) | instid1(VALU_DEP_1)
	v_mul_lo_u16 v0, v137, 3
	v_sub_nc_u16 v0, v56, v0
	s_delay_alu instid0(VALU_DEP_1) | instskip(NEXT) | instid1(VALU_DEP_1)
	v_and_b32_e32 v138, 0xffff, v0
	v_lshlrev_b32_e32 v18, 5, v138
	s_clause 0x1
	global_load_b128 v[0:3], v18, s[4:5]
	global_load_b128 v[18:21], v18, s[4:5] offset:16
	s_waitcnt vmcnt(1) lgkmcnt(0)
	v_mul_f64 v[22:23], v[32:33], v[2:3]
	v_mul_f64 v[2:3], v[30:31], v[2:3]
	s_delay_alu instid0(VALU_DEP_2) | instskip(NEXT) | instid1(VALU_DEP_2)
	v_fma_f64 v[98:99], v[30:31], v[0:1], v[22:23]
	v_fma_f64 v[100:101], v[32:33], v[0:1], -v[2:3]
	ds_load_b128 v[0:3], v168 offset:46656
	ds_load_b128 v[22:25], v168 offset:48384
	s_waitcnt vmcnt(0) lgkmcnt(1)
	v_mul_f64 v[26:27], v[2:3], v[20:21]
	s_delay_alu instid0(VALU_DEP_1) | instskip(SKIP_1) | instid1(VALU_DEP_1)
	v_fma_f64 v[102:103], v[0:1], v[18:19], v[26:27]
	v_mul_f64 v[0:1], v[0:1], v[20:21]
	v_fma_f64 v[104:105], v[2:3], v[18:19], -v[0:1]
	v_and_b32_e32 v0, 0xffff, v55
	s_delay_alu instid0(VALU_DEP_1) | instskip(NEXT) | instid1(VALU_DEP_1)
	v_mul_u32_u24_e32 v0, 0xaaab, v0
	v_lshrrev_b32_e32 v139, 17, v0
	s_delay_alu instid0(VALU_DEP_1) | instskip(NEXT) | instid1(VALU_DEP_1)
	v_mul_lo_u16 v0, v139, 3
	v_sub_nc_u16 v0, v55, v0
	s_delay_alu instid0(VALU_DEP_1) | instskip(NEXT) | instid1(VALU_DEP_1)
	v_and_b32_e32 v140, 0xffff, v0
	v_lshlrev_b32_e32 v0, 5, v140
	s_clause 0x1
	global_load_b128 v[18:21], v0, s[4:5]
	global_load_b128 v[26:29], v0, s[4:5] offset:16
	ds_load_b128 v[30:33], v168 offset:31104
	ds_load_b128 v[0:3], v174
	s_waitcnt vmcnt(1) lgkmcnt(1)
	v_mul_f64 v[34:35], v[32:33], v[20:21]
	v_mul_f64 v[20:21], v[30:31], v[20:21]
	s_delay_alu instid0(VALU_DEP_2) | instskip(NEXT) | instid1(VALU_DEP_2)
	v_fma_f64 v[106:107], v[30:31], v[18:19], v[34:35]
	v_fma_f64 v[108:109], v[32:33], v[18:19], -v[20:21]
	s_waitcnt vmcnt(0)
	v_mul_f64 v[18:19], v[24:25], v[28:29]
	s_delay_alu instid0(VALU_DEP_1) | instskip(SKIP_1) | instid1(VALU_DEP_1)
	v_fma_f64 v[110:111], v[22:23], v[26:27], v[18:19]
	v_mul_f64 v[18:19], v[22:23], v[28:29]
	v_fma_f64 v[112:113], v[24:25], v[26:27], -v[18:19]
	v_and_b32_e32 v18, 0xffff, v54
	s_delay_alu instid0(VALU_DEP_1) | instskip(NEXT) | instid1(VALU_DEP_1)
	v_mul_u32_u24_e32 v18, 0xaaab, v18
	v_lshrrev_b32_e32 v141, 17, v18
	s_delay_alu instid0(VALU_DEP_1) | instskip(NEXT) | instid1(VALU_DEP_1)
	v_mul_lo_u16 v18, v141, 3
	v_sub_nc_u16 v18, v54, v18
	s_delay_alu instid0(VALU_DEP_1) | instskip(NEXT) | instid1(VALU_DEP_1)
	v_and_b32_e32 v142, 0xffff, v18
	v_lshlrev_b32_e32 v22, 5, v142
	s_clause 0x1
	global_load_b128 v[18:21], v22, s[4:5]
	global_load_b128 v[22:25], v22, s[4:5] offset:16
	s_waitcnt vmcnt(1)
	v_mul_f64 v[26:27], v[6:7], v[20:21]
	s_delay_alu instid0(VALU_DEP_1) | instskip(SKIP_1) | instid1(VALU_DEP_1)
	v_fma_f64 v[114:115], v[4:5], v[18:19], v[26:27]
	v_mul_f64 v[4:5], v[4:5], v[20:21]
	v_fma_f64 v[116:117], v[6:7], v[18:19], -v[4:5]
	ds_load_b128 v[4:7], v168 offset:50112
	ds_load_b128 v[18:21], v168
	s_waitcnt vmcnt(0) lgkmcnt(1)
	v_mul_f64 v[26:27], v[6:7], v[24:25]
	s_delay_alu instid0(VALU_DEP_1) | instskip(SKIP_1) | instid1(VALU_DEP_1)
	v_fma_f64 v[118:119], v[4:5], v[22:23], v[26:27]
	v_mul_f64 v[4:5], v[4:5], v[24:25]
	v_fma_f64 v[120:121], v[6:7], v[22:23], -v[4:5]
	v_add_f64 v[4:5], v[8:9], v[12:13]
	s_waitcnt lgkmcnt(0)
	s_delay_alu instid0(VALU_DEP_1) | instskip(SKIP_3) | instid1(VALU_DEP_3)
	v_fma_f64 v[22:23], v[4:5], -0.5, v[18:19]
	v_add_f64 v[4:5], v[10:11], v[14:15]
	v_add_f64 v[18:19], v[18:19], v[8:9]
	v_add_f64 v[8:9], v[8:9], -v[12:13]
	v_fma_f64 v[24:25], v[4:5], -0.5, v[20:21]
	v_add_f64 v[4:5], v[20:21], v[10:11]
	v_add_f64 v[10:11], v[10:11], -v[14:15]
	s_delay_alu instid0(VALU_DEP_3) | instskip(NEXT) | instid1(VALU_DEP_3)
	v_fma_f64 v[34:35], v[8:9], s[2:3], v[24:25]
	v_add_f64 v[6:7], v[4:5], v[14:15]
	v_add_f64 v[4:5], v[18:19], v[12:13]
	s_delay_alu instid0(VALU_DEP_4) | instskip(SKIP_4) | instid1(VALU_DEP_2)
	v_fma_f64 v[32:33], v[10:11], s[6:7], v[22:23]
	v_fma_f64 v[28:29], v[10:11], s[2:3], v[22:23]
	;; [unrolled: 1-line block ×3, first 2 shown]
	v_and_b32_e32 v8, 0xffff, v16
	v_lshlrev_b32_e32 v9, 4, v17
	v_mul_u32_u24_e32 v8, 0x90, v8
	s_delay_alu instid0(VALU_DEP_1)
	v_add3_u32 v155, 0, v8, v9
	v_sub_nc_u32_e32 v8, v171, v51
	v_sub_nc_u32_e32 v9, v170, v178
	ds_load_b128 v[16:19], v8
	ds_load_b128 v[12:15], v9
	;; [unrolled: 1-line block ×8, first 2 shown]
	s_waitcnt lgkmcnt(0)
	s_barrier
	buffer_gl0_inv
	ds_store_b128 v155, v[4:7]
	ds_store_b128 v155, v[32:35] offset:48
	ds_store_b128 v155, v[28:31] offset:96
	v_add_f64 v[4:5], v[42:43], v[80:81]
	v_add_f64 v[28:29], v[76:77], -v[94:95]
	v_add_f64 v[32:33], v[42:43], -v[80:81]
	s_delay_alu instid0(VALU_DEP_3) | instskip(SKIP_2) | instid1(VALU_DEP_2)
	v_fma_f64 v[6:7], v[4:5], -0.5, v[0:1]
	v_add_f64 v[4:5], v[76:77], v[94:95]
	v_add_f64 v[0:1], v[0:1], v[42:43]
	v_fma_f64 v[30:31], v[4:5], -0.5, v[2:3]
	v_add_f64 v[2:3], v[2:3], v[76:77]
	s_delay_alu instid0(VALU_DEP_3)
	v_add_f64 v[0:1], v[0:1], v[80:81]
	v_fma_f64 v[4:5], v[28:29], s[6:7], v[6:7]
	v_fma_f64 v[28:29], v[28:29], s[2:3], v[6:7]
	;; [unrolled: 1-line block ×3, first 2 shown]
	v_add_f64 v[2:3], v[2:3], v[94:95]
	v_fma_f64 v[30:31], v[32:33], s[6:7], v[30:31]
	v_and_b32_e32 v32, 0xffff, v134
	v_lshlrev_b32_e32 v33, 4, v136
	s_delay_alu instid0(VALU_DEP_2) | instskip(NEXT) | instid1(VALU_DEP_1)
	v_mul_u32_u24_e32 v32, 0x90, v32
	v_add3_u32 v32, 0, v32, v33
	ds_store_b128 v32, v[0:3]
	ds_store_b128 v32, v[4:7] offset:48
	ds_store_b128 v32, v[28:31] offset:96
	v_add_f64 v[0:1], v[44:45], v[74:75]
	v_add_f64 v[4:5], v[143:144], v[44:45]
	v_add_f64 v[28:29], v[78:79], -v[90:91]
	v_add_f64 v[32:33], v[44:45], -v[74:75]
	s_delay_alu instid0(VALU_DEP_4) | instskip(SKIP_1) | instid1(VALU_DEP_1)
	v_fma_f64 v[6:7], v[0:1], -0.5, v[143:144]
	v_add_f64 v[0:1], v[78:79], v[90:91]
	v_fma_f64 v[30:31], v[0:1], -0.5, v[145:146]
	v_add_f64 v[0:1], v[145:146], v[78:79]
	s_delay_alu instid0(VALU_DEP_1)
	v_add_f64 v[2:3], v[0:1], v[90:91]
	v_add_f64 v[0:1], v[4:5], v[74:75]
	v_fma_f64 v[4:5], v[28:29], s[6:7], v[6:7]
	v_fma_f64 v[28:29], v[28:29], s[2:3], v[6:7]
	v_fma_f64 v[6:7], v[32:33], s[2:3], v[30:31]
	v_fma_f64 v[30:31], v[32:33], s[6:7], v[30:31]
	v_mul_u32_u24_e32 v32, 0x90, v130
	v_lshlrev_b32_e32 v33, 4, v135
	s_delay_alu instid0(VALU_DEP_1)
	v_add3_u32 v32, 0, v32, v33
	ds_store_b128 v32, v[0:3]
	ds_store_b128 v32, v[4:7] offset:48
	ds_store_b128 v32, v[28:31] offset:96
	v_add_f64 v[0:1], v[38:39], v[68:69]
	v_add_f64 v[4:5], v[147:148], v[38:39]
	v_add_f64 v[28:29], v[64:65], -v[86:87]
	v_add_f64 v[32:33], v[38:39], -v[68:69]
	s_delay_alu instid0(VALU_DEP_4) | instskip(SKIP_1) | instid1(VALU_DEP_1)
	v_fma_f64 v[6:7], v[0:1], -0.5, v[147:148]
	v_add_f64 v[0:1], v[64:65], v[86:87]
	v_fma_f64 v[30:31], v[0:1], -0.5, v[149:150]
	v_add_f64 v[0:1], v[149:150], v[64:65]
	s_delay_alu instid0(VALU_DEP_1)
	v_add_f64 v[2:3], v[0:1], v[86:87]
	v_add_f64 v[0:1], v[4:5], v[68:69]
	v_fma_f64 v[4:5], v[28:29], s[6:7], v[6:7]
	v_fma_f64 v[28:29], v[28:29], s[2:3], v[6:7]
	v_fma_f64 v[6:7], v[32:33], s[2:3], v[30:31]
	v_fma_f64 v[30:31], v[32:33], s[6:7], v[30:31]
	v_mul_u32_u24_e32 v32, 0x90, v128
	v_lshlrev_b32_e32 v33, 4, v133
	s_delay_alu instid0(VALU_DEP_1)
	v_add3_u32 v32, 0, v32, v33
	ds_store_b128 v32, v[0:3]
	ds_store_b128 v32, v[4:7] offset:48
	ds_store_b128 v32, v[28:31] offset:96
	v_add_f64 v[0:1], v[40:41], v[66:67]
	v_add_f64 v[4:5], v[151:152], v[40:41]
	v_add_f64 v[28:29], v[70:71], -v[82:83]
	v_add_f64 v[32:33], v[40:41], -v[66:67]
	s_delay_alu instid0(VALU_DEP_4) | instskip(SKIP_1) | instid1(VALU_DEP_1)
	v_fma_f64 v[6:7], v[0:1], -0.5, v[151:152]
	v_add_f64 v[0:1], v[70:71], v[82:83]
	v_fma_f64 v[30:31], v[0:1], -0.5, v[153:154]
	v_add_f64 v[0:1], v[153:154], v[70:71]
	s_delay_alu instid0(VALU_DEP_1)
	v_add_f64 v[2:3], v[0:1], v[82:83]
	v_add_f64 v[0:1], v[4:5], v[66:67]
	v_fma_f64 v[4:5], v[28:29], s[6:7], v[6:7]
	v_fma_f64 v[28:29], v[28:29], s[2:3], v[6:7]
	v_fma_f64 v[6:7], v[32:33], s[2:3], v[30:31]
	v_fma_f64 v[30:31], v[32:33], s[6:7], v[30:31]
	v_mul_u32_u24_e32 v32, 0x90, v126
	v_lshlrev_b32_e32 v33, 4, v131
	s_delay_alu instid0(VALU_DEP_1)
	v_add3_u32 v32, 0, v32, v33
	ds_store_b128 v32, v[0:3]
	ds_store_b128 v32, v[4:7] offset:48
	ds_store_b128 v32, v[28:31] offset:96
	v_add_f64 v[0:1], v[36:37], v[72:73]
	v_add_f64 v[4:5], v[24:25], v[36:37]
	s_delay_alu instid0(VALU_DEP_2) | instskip(SKIP_2) | instid1(VALU_DEP_2)
	v_fma_f64 v[6:7], v[0:1], -0.5, v[24:25]
	v_add_f64 v[0:1], v[46:47], v[88:89]
	v_add_f64 v[24:25], v[46:47], -v[88:89]
	v_fma_f64 v[28:29], v[0:1], -0.5, v[26:27]
	v_add_f64 v[0:1], v[26:27], v[46:47]
	v_add_f64 v[26:27], v[36:37], -v[72:73]
	s_delay_alu instid0(VALU_DEP_2)
	v_add_f64 v[2:3], v[0:1], v[88:89]
	v_add_f64 v[0:1], v[4:5], v[72:73]
	v_fma_f64 v[4:5], v[24:25], s[6:7], v[6:7]
	v_fma_f64 v[24:25], v[24:25], s[2:3], v[6:7]
	v_fma_f64 v[6:7], v[26:27], s[2:3], v[28:29]
	v_fma_f64 v[26:27], v[26:27], s[6:7], v[28:29]
	v_mul_u32_u24_e32 v28, 0x90, v125
	v_lshlrev_b32_e32 v29, 4, v129
	s_delay_alu instid0(VALU_DEP_1)
	v_add3_u32 v28, 0, v28, v29
	ds_store_b128 v28, v[0:3]
	ds_store_b128 v28, v[4:7] offset:48
	ds_store_b128 v28, v[24:27] offset:96
	v_add_f64 v[0:1], v[62:63], v[92:93]
	v_add_f64 v[4:5], v[20:21], v[62:63]
	s_delay_alu instid0(VALU_DEP_2) | instskip(SKIP_2) | instid1(VALU_DEP_2)
	v_fma_f64 v[6:7], v[0:1], -0.5, v[20:21]
	v_add_f64 v[0:1], v[84:85], v[96:97]
	v_add_f64 v[20:21], v[84:85], -v[96:97]
	v_fma_f64 v[24:25], v[0:1], -0.5, v[22:23]
	v_add_f64 v[0:1], v[22:23], v[84:85]
	v_add_f64 v[22:23], v[62:63], -v[92:93]
	s_delay_alu instid0(VALU_DEP_2)
	v_add_f64 v[2:3], v[0:1], v[96:97]
	v_add_f64 v[0:1], v[4:5], v[92:93]
	v_fma_f64 v[4:5], v[20:21], s[6:7], v[6:7]
	v_fma_f64 v[20:21], v[20:21], s[2:3], v[6:7]
	v_fma_f64 v[6:7], v[22:23], s[2:3], v[24:25]
	v_fma_f64 v[22:23], v[22:23], s[6:7], v[24:25]
	v_mul_u32_u24_e32 v24, 0x90, v127
	v_lshlrev_b32_e32 v25, 4, v132
	s_delay_alu instid0(VALU_DEP_1)
	;; [unrolled: 23-line block ×5, first 2 shown]
	v_add3_u32 v12, 0, v12, v13
	ds_store_b128 v12, v[0:3]
	ds_store_b128 v12, v[4:7] offset:48
	ds_store_b128 v12, v[8:11] offset:96
	v_mul_lo_u16 v0, v124, 57
	s_waitcnt lgkmcnt(0)
	s_barrier
	buffer_gl0_inv
	v_lshrrev_b16 v188, 9, v0
	s_delay_alu instid0(VALU_DEP_1) | instskip(NEXT) | instid1(VALU_DEP_1)
	v_mul_lo_u16 v0, v188, 9
	v_sub_nc_u16 v0, v48, v0
	s_delay_alu instid0(VALU_DEP_1) | instskip(NEXT) | instid1(VALU_DEP_1)
	v_and_b32_e32 v187, 0xff, v0
	v_mul_u32_u24_e32 v0, 9, v187
	s_delay_alu instid0(VALU_DEP_1)
	v_lshlrev_b32_e32 v16, 4, v0
	s_clause 0x1
	global_load_b128 v[8:11], v16, s[4:5] offset:96
	global_load_b128 v[4:7], v16, s[4:5] offset:112
	ds_load_b128 v[12:15], v176
	ds_load_b128 v[0:3], v177
	s_waitcnt vmcnt(1) lgkmcnt(1)
	v_mul_f64 v[17:18], v[14:15], v[10:11]
	v_mul_f64 v[10:11], v[12:13], v[10:11]
	s_delay_alu instid0(VALU_DEP_2) | instskip(NEXT) | instid1(VALU_DEP_2)
	v_fma_f64 v[102:103], v[12:13], v[8:9], v[17:18]
	v_fma_f64 v[104:105], v[14:15], v[8:9], -v[10:11]
	ds_load_b128 v[8:11], v122
	ds_load_b128 v[12:15], v123
	s_waitcnt vmcnt(0) lgkmcnt(1)
	v_mul_f64 v[17:18], v[10:11], v[6:7]
	v_mul_f64 v[6:7], v[8:9], v[6:7]
	s_delay_alu instid0(VALU_DEP_2) | instskip(NEXT) | instid1(VALU_DEP_2)
	v_fma_f64 v[106:107], v[8:9], v[4:5], v[17:18]
	v_fma_f64 v[108:109], v[10:11], v[4:5], -v[6:7]
	s_clause 0x1
	global_load_b128 v[4:7], v16, s[4:5] offset:128
	global_load_b128 v[8:11], v16, s[4:5] offset:144
	s_waitcnt vmcnt(1) lgkmcnt(0)
	v_mul_f64 v[17:18], v[14:15], v[6:7]
	v_mul_f64 v[6:7], v[12:13], v[6:7]
	s_delay_alu instid0(VALU_DEP_2) | instskip(NEXT) | instid1(VALU_DEP_2)
	v_fma_f64 v[112:113], v[12:13], v[4:5], v[17:18]
	v_fma_f64 v[110:111], v[14:15], v[4:5], -v[6:7]
	ds_load_b128 v[4:7], v168 offset:20736
	ds_load_b128 v[12:15], v168 offset:22464
	s_waitcnt vmcnt(0) lgkmcnt(1)
	v_mul_f64 v[17:18], v[6:7], v[10:11]
	s_delay_alu instid0(VALU_DEP_1) | instskip(SKIP_1) | instid1(VALU_DEP_1)
	v_fma_f64 v[114:115], v[4:5], v[8:9], v[17:18]
	v_mul_f64 v[4:5], v[4:5], v[10:11]
	v_fma_f64 v[116:117], v[6:7], v[8:9], -v[4:5]
	s_clause 0x1
	global_load_b128 v[4:7], v16, s[4:5] offset:160
	global_load_b128 v[8:11], v16, s[4:5] offset:176
	ds_load_b128 v[17:20], v168 offset:25920
	ds_load_b128 v[30:33], v168 offset:24192
	s_waitcnt vmcnt(1) lgkmcnt(1)
	v_mul_f64 v[21:22], v[19:20], v[6:7]
	v_mul_f64 v[6:7], v[17:18], v[6:7]
	s_delay_alu instid0(VALU_DEP_2) | instskip(NEXT) | instid1(VALU_DEP_2)
	v_fma_f64 v[120:121], v[17:18], v[4:5], v[21:22]
	v_fma_f64 v[118:119], v[19:20], v[4:5], -v[6:7]
	ds_load_b128 v[17:20], v168 offset:31104
	ds_load_b128 v[4:7], v174
	s_waitcnt vmcnt(0) lgkmcnt(1)
	v_mul_f64 v[21:22], v[19:20], v[10:11]
	v_mul_f64 v[10:11], v[17:18], v[10:11]
	s_delay_alu instid0(VALU_DEP_2) | instskip(NEXT) | instid1(VALU_DEP_2)
	v_fma_f64 v[122:123], v[17:18], v[8:9], v[21:22]
	v_fma_f64 v[124:125], v[19:20], v[8:9], -v[10:11]
	s_clause 0x1
	global_load_b128 v[8:11], v16, s[4:5] offset:192
	global_load_b128 v[17:20], v16, s[4:5] offset:208
	ds_load_b128 v[21:24], v168 offset:36288
	ds_load_b128 v[25:28], v168 offset:38016
	v_add_f64 v[205:206], v[114:115], -v[122:123]
	s_waitcnt vmcnt(1) lgkmcnt(1)
	v_mul_f64 v[34:35], v[23:24], v[10:11]
	v_mul_f64 v[10:11], v[21:22], v[10:11]
	s_delay_alu instid0(VALU_DEP_2) | instskip(NEXT) | instid1(VALU_DEP_2)
	v_fma_f64 v[128:129], v[21:22], v[8:9], v[34:35]
	v_fma_f64 v[126:127], v[23:24], v[8:9], -v[10:11]
	ds_load_b128 v[8:11], v168 offset:41472
	ds_load_b128 v[44:47], v168 offset:39744
	s_waitcnt vmcnt(0) lgkmcnt(1)
	v_mul_f64 v[21:22], v[10:11], v[19:20]
	v_add_f64 v[158:159], v[120:121], -v[128:129]
	s_delay_alu instid0(VALU_DEP_2) | instskip(SKIP_1) | instid1(VALU_DEP_2)
	v_fma_f64 v[130:131], v[8:9], v[17:18], v[21:22]
	v_mul_f64 v[8:9], v[8:9], v[19:20]
	v_add_f64 v[203:204], v[106:107], -v[130:131]
	s_delay_alu instid0(VALU_DEP_2) | instskip(SKIP_1) | instid1(VALU_DEP_1)
	v_fma_f64 v[132:133], v[10:11], v[17:18], -v[8:9]
	v_mul_lo_u16 v8, v186, 57
	v_lshrrev_b16 v191, 9, v8
	s_delay_alu instid0(VALU_DEP_1) | instskip(NEXT) | instid1(VALU_DEP_1)
	v_mul_lo_u16 v8, v191, 9
	v_sub_nc_u16 v8, v50, v8
	s_delay_alu instid0(VALU_DEP_1) | instskip(NEXT) | instid1(VALU_DEP_1)
	v_and_b32_e32 v192, 0xff, v8
	v_mul_u32_u24_e32 v8, 9, v192
	s_delay_alu instid0(VALU_DEP_1)
	v_lshlrev_b32_e32 v24, 4, v8
	s_clause 0x1
	global_load_b128 v[8:11], v16, s[4:5] offset:224
	global_load_b128 v[16:19], v24, s[4:5] offset:96
	ds_load_b128 v[20:23], v168 offset:46656
	ds_load_b128 v[34:37], v168 offset:48384
	v_add_f64 v[150:151], v[132:133], -v[124:125]
	v_add_f64 v[201:202], v[108:109], -v[132:133]
	s_waitcnt vmcnt(1) lgkmcnt(1)
	v_mul_f64 v[38:39], v[22:23], v[10:11]
	v_mul_f64 v[10:11], v[20:21], v[10:11]
	s_delay_alu instid0(VALU_DEP_2) | instskip(NEXT) | instid1(VALU_DEP_2)
	v_fma_f64 v[136:137], v[20:21], v[8:9], v[38:39]
	v_fma_f64 v[134:135], v[22:23], v[8:9], -v[10:11]
	ds_load_b128 v[8:11], v168 offset:6912
	ds_load_b128 v[20:23], v168 offset:8640
	s_waitcnt vmcnt(0) lgkmcnt(1)
	v_mul_f64 v[38:39], v[10:11], v[18:19]
	v_add_f64 v[152:153], v[136:137], -v[128:129]
	v_add_f64 v[154:155], v[134:135], -v[126:127]
	;; [unrolled: 1-line block ×4, first 2 shown]
	v_fma_f64 v[66:67], v[8:9], v[16:17], v[38:39]
	v_mul_f64 v[8:9], v[8:9], v[18:19]
	s_delay_alu instid0(VALU_DEP_1)
	v_fma_f64 v[68:69], v[10:11], v[16:17], -v[8:9]
	s_clause 0x1
	global_load_b128 v[8:11], v24, s[4:5] offset:112
	global_load_b128 v[16:19], v24, s[4:5] offset:128
	ds_load_b128 v[38:41], v168 offset:12096
	ds_load_b128 v[62:65], v168 offset:13824
	s_waitcnt vmcnt(1) lgkmcnt(1)
	v_mul_f64 v[42:43], v[40:41], v[10:11]
	v_mul_f64 v[10:11], v[38:39], v[10:11]
	s_delay_alu instid0(VALU_DEP_2) | instskip(NEXT) | instid1(VALU_DEP_2)
	v_fma_f64 v[70:71], v[38:39], v[8:9], v[42:43]
	v_fma_f64 v[72:73], v[40:41], v[8:9], -v[10:11]
	ds_load_b128 v[8:11], v168 offset:17280
	ds_load_b128 v[38:41], v168 offset:19008
	s_waitcnt vmcnt(0) lgkmcnt(1)
	v_mul_f64 v[42:43], v[10:11], v[18:19]
	s_delay_alu instid0(VALU_DEP_1) | instskip(SKIP_1) | instid1(VALU_DEP_1)
	v_fma_f64 v[76:77], v[8:9], v[16:17], v[42:43]
	v_mul_f64 v[8:9], v[8:9], v[18:19]
	v_fma_f64 v[74:75], v[10:11], v[16:17], -v[8:9]
	s_clause 0x1
	global_load_b128 v[8:11], v24, s[4:5] offset:144
	global_load_b128 v[16:19], v24, s[4:5] offset:160
	s_waitcnt vmcnt(1)
	v_mul_f64 v[42:43], v[14:15], v[10:11]
	v_mul_f64 v[10:11], v[12:13], v[10:11]
	s_delay_alu instid0(VALU_DEP_2) | instskip(NEXT) | instid1(VALU_DEP_2)
	v_fma_f64 v[78:79], v[12:13], v[8:9], v[42:43]
	v_fma_f64 v[80:81], v[14:15], v[8:9], -v[10:11]
	ds_load_b128 v[8:11], v168 offset:27648
	ds_load_b128 v[12:15], v168 offset:29376
	s_waitcnt vmcnt(0) lgkmcnt(1)
	v_mul_f64 v[42:43], v[10:11], v[18:19]
	s_delay_alu instid0(VALU_DEP_1) | instskip(SKIP_1) | instid1(VALU_DEP_1)
	v_fma_f64 v[84:85], v[8:9], v[16:17], v[42:43]
	v_mul_f64 v[8:9], v[8:9], v[18:19]
	v_fma_f64 v[82:83], v[10:11], v[16:17], -v[8:9]
	s_clause 0x1
	global_load_b128 v[8:11], v24, s[4:5] offset:176
	global_load_b128 v[16:19], v24, s[4:5] offset:192
	ds_load_b128 v[86:89], v168 offset:32832
	ds_load_b128 v[138:141], v168 offset:34560
	s_waitcnt vmcnt(1) lgkmcnt(1)
	v_mul_f64 v[42:43], v[88:89], v[10:11]
	v_mul_f64 v[10:11], v[86:87], v[10:11]
	s_delay_alu instid0(VALU_DEP_2) | instskip(NEXT) | instid1(VALU_DEP_2)
	v_fma_f64 v[90:91], v[86:87], v[8:9], v[42:43]
	v_fma_f64 v[92:93], v[88:89], v[8:9], -v[10:11]
	s_waitcnt vmcnt(0)
	v_mul_f64 v[8:9], v[27:28], v[18:19]
	s_delay_alu instid0(VALU_DEP_1) | instskip(SKIP_1) | instid1(VALU_DEP_1)
	v_fma_f64 v[88:89], v[25:26], v[16:17], v[8:9]
	v_mul_f64 v[8:9], v[25:26], v[18:19]
	v_fma_f64 v[86:87], v[27:28], v[16:17], -v[8:9]
	s_clause 0x1
	global_load_b128 v[8:11], v24, s[4:5] offset:208
	global_load_b128 v[16:19], v24, s[4:5] offset:224
	ds_load_b128 v[24:27], v168 offset:43200
	ds_load_b128 v[142:145], v168 offset:44928
	s_waitcnt vmcnt(1) lgkmcnt(1)
	v_mul_f64 v[28:29], v[26:27], v[10:11]
	v_mul_f64 v[10:11], v[24:25], v[10:11]
	s_delay_alu instid0(VALU_DEP_2) | instskip(NEXT) | instid1(VALU_DEP_2)
	v_fma_f64 v[98:99], v[24:25], v[8:9], v[28:29]
	v_fma_f64 v[100:101], v[26:27], v[8:9], -v[10:11]
	s_waitcnt vmcnt(0)
	v_mul_f64 v[8:9], v[36:37], v[18:19]
	s_delay_alu instid0(VALU_DEP_1) | instskip(SKIP_1) | instid1(VALU_DEP_1)
	v_fma_f64 v[96:97], v[34:35], v[16:17], v[8:9]
	v_mul_f64 v[8:9], v[34:35], v[18:19]
	v_fma_f64 v[94:95], v[36:37], v[16:17], -v[8:9]
	v_mul_u32_u24_e32 v8, 0xe38f, v185
	s_delay_alu instid0(VALU_DEP_1) | instskip(NEXT) | instid1(VALU_DEP_1)
	v_lshrrev_b32_e32 v189, 19, v8
	v_mul_lo_u16 v8, v189, 9
	s_delay_alu instid0(VALU_DEP_1) | instskip(NEXT) | instid1(VALU_DEP_1)
	v_sub_nc_u16 v8, v61, v8
	v_and_b32_e32 v190, 0xffff, v8
	s_delay_alu instid0(VALU_DEP_1) | instskip(NEXT) | instid1(VALU_DEP_1)
	v_mul_u32_u24_e32 v8, 9, v190
	v_lshlrev_b32_e32 v146, 4, v8
	s_clause 0x1
	global_load_b128 v[8:11], v146, s[4:5] offset:96
	global_load_b128 v[24:27], v146, s[4:5] offset:112
	s_waitcnt vmcnt(1)
	v_mul_f64 v[16:17], v[22:23], v[10:11]
	v_mul_f64 v[10:11], v[20:21], v[10:11]
	s_delay_alu instid0(VALU_DEP_2) | instskip(NEXT) | instid1(VALU_DEP_2)
	v_fma_f64 v[16:17], v[20:21], v[8:9], v[16:17]
	v_fma_f64 v[18:19], v[22:23], v[8:9], -v[10:11]
	s_waitcnt vmcnt(0)
	v_mul_f64 v[8:9], v[64:65], v[26:27]
	s_delay_alu instid0(VALU_DEP_1) | instskip(SKIP_1) | instid1(VALU_DEP_1)
	v_fma_f64 v[20:21], v[62:63], v[24:25], v[8:9]
	v_mul_f64 v[8:9], v[62:63], v[26:27]
	v_fma_f64 v[24:25], v[64:65], v[24:25], -v[8:9]
	s_clause 0x1
	global_load_b128 v[8:11], v146, s[4:5] offset:128
	global_load_b128 v[34:37], v146, s[4:5] offset:144
	s_waitcnt vmcnt(1)
	v_mul_f64 v[22:23], v[40:41], v[10:11]
	v_mul_f64 v[10:11], v[38:39], v[10:11]
	s_delay_alu instid0(VALU_DEP_2) | instskip(NEXT) | instid1(VALU_DEP_2)
	v_fma_f64 v[26:27], v[38:39], v[8:9], v[22:23]
	v_fma_f64 v[22:23], v[40:41], v[8:9], -v[10:11]
	s_waitcnt vmcnt(0)
	v_mul_f64 v[8:9], v[32:33], v[36:37]
	s_delay_alu instid0(VALU_DEP_1) | instskip(SKIP_1) | instid1(VALU_DEP_1)
	v_fma_f64 v[28:29], v[30:31], v[34:35], v[8:9]
	v_mul_f64 v[8:9], v[30:31], v[36:37]
	v_fma_f64 v[32:33], v[32:33], v[34:35], -v[8:9]
	;; [unrolled: 15-line block ×3, first 2 shown]
	s_clause 0x1
	global_load_b128 v[8:11], v146, s[4:5] offset:192
	global_load_b128 v[12:15], v146, s[4:5] offset:208
	s_waitcnt vmcnt(1)
	v_mul_f64 v[38:39], v[46:47], v[10:11]
	v_mul_f64 v[10:11], v[44:45], v[10:11]
	s_delay_alu instid0(VALU_DEP_2) | instskip(NEXT) | instid1(VALU_DEP_2)
	v_fma_f64 v[42:43], v[44:45], v[8:9], v[38:39]
	v_fma_f64 v[38:39], v[46:47], v[8:9], -v[10:11]
	s_waitcnt vmcnt(0) lgkmcnt(0)
	v_mul_f64 v[8:9], v[144:145], v[14:15]
	s_delay_alu instid0(VALU_DEP_1) | instskip(SKIP_1) | instid1(VALU_DEP_1)
	v_fma_f64 v[44:45], v[142:143], v[12:13], v[8:9]
	v_mul_f64 v[8:9], v[142:143], v[14:15]
	v_fma_f64 v[62:63], v[144:145], v[12:13], -v[8:9]
	global_load_b128 v[8:11], v146, s[4:5] offset:224
	ds_load_b128 v[12:15], v168 offset:50112
	s_waitcnt vmcnt(0) lgkmcnt(0)
	v_mul_f64 v[46:47], v[14:15], v[10:11]
	v_mul_f64 v[10:11], v[12:13], v[10:11]
	s_delay_alu instid0(VALU_DEP_2) | instskip(SKIP_1) | instid1(VALU_DEP_3)
	v_fma_f64 v[64:65], v[12:13], v[8:9], v[46:47]
	v_add_f64 v[12:13], v[114:115], v[122:123]
	v_fma_f64 v[46:47], v[14:15], v[8:9], -v[10:11]
	ds_load_b128 v[8:11], v168
	v_add_f64 v[14:15], v[104:105], v[110:111]
	s_waitcnt lgkmcnt(0)
	s_barrier
	buffer_gl0_inv
	v_fma_f64 v[138:139], v[12:13], -0.5, v[8:9]
	v_add_f64 v[12:13], v[106:107], v[130:131]
	v_add_f64 v[14:15], v[14:15], v[118:119]
	s_delay_alu instid0(VALU_DEP_2) | instskip(SKIP_2) | instid1(VALU_DEP_4)
	v_fma_f64 v[142:143], v[12:13], -0.5, v[8:9]
	v_add_f64 v[12:13], v[116:117], v[124:125]
	v_add_f64 v[8:9], v[8:9], v[106:107]
	;; [unrolled: 1-line block ×3, first 2 shown]
	s_delay_alu instid0(VALU_DEP_3) | instskip(SKIP_1) | instid1(VALU_DEP_4)
	v_fma_f64 v[140:141], v[12:13], -0.5, v[10:11]
	v_add_f64 v[12:13], v[108:109], v[132:133]
	v_add_f64 v[8:9], v[8:9], v[114:115]
	s_delay_alu instid0(VALU_DEP_4) | instskip(NEXT) | instid1(VALU_DEP_3)
	v_add_f64 v[148:149], v[14:15], v[134:135]
	v_fma_f64 v[144:145], v[12:13], -0.5, v[10:11]
	v_add_f64 v[10:11], v[10:11], v[108:109]
	v_add_f64 v[12:13], v[102:103], v[112:113]
	;; [unrolled: 1-line block ×3, first 2 shown]
	s_delay_alu instid0(VALU_DEP_3) | instskip(NEXT) | instid1(VALU_DEP_3)
	v_add_f64 v[10:11], v[10:11], v[116:117]
	v_add_f64 v[12:13], v[12:13], v[120:121]
	s_delay_alu instid0(VALU_DEP_3) | instskip(NEXT) | instid1(VALU_DEP_3)
	v_add_f64 v[8:9], v[8:9], v[130:131]
	v_add_f64 v[10:11], v[10:11], v[124:125]
	s_delay_alu instid0(VALU_DEP_3) | instskip(NEXT) | instid1(VALU_DEP_2)
	v_add_f64 v[12:13], v[12:13], v[128:129]
	v_add_f64 v[10:11], v[10:11], v[132:133]
	s_delay_alu instid0(VALU_DEP_2) | instskip(NEXT) | instid1(VALU_DEP_2)
	v_add_f64 v[146:147], v[12:13], v[136:137]
	v_add_f64 v[14:15], v[10:11], v[148:149]
	s_delay_alu instid0(VALU_DEP_2)
	v_add_f64 v[12:13], v[8:9], v[146:147]
	v_add_f64 v[8:9], v[8:9], -v[146:147]
	v_add_f64 v[10:11], v[10:11], -v[148:149]
	;; [unrolled: 1-line block ×8, first 2 shown]
	v_add_f64 v[146:147], v[146:147], v[148:149]
	v_add_f64 v[148:149], v[108:109], -v[116:117]
	v_add_f64 v[108:109], v[116:117], -v[108:109]
	v_add_f64 v[114:115], v[106:107], v[114:115]
	s_delay_alu instid0(VALU_DEP_3) | instskip(SKIP_1) | instid1(VALU_DEP_1)
	v_add_f64 v[148:149], v[148:149], v[150:151]
	v_add_f64 v[150:151], v[112:113], -v[120:121]
	v_add_f64 v[150:151], v[150:151], v[152:153]
	v_add_f64 v[152:153], v[110:111], -v[118:119]
	s_delay_alu instid0(VALU_DEP_1) | instskip(SKIP_1) | instid1(VALU_DEP_1)
	v_add_f64 v[152:153], v[152:153], v[154:155]
	v_add_f64 v[154:155], v[118:119], v[126:127]
	v_fma_f64 v[156:157], v[154:155], -0.5, v[104:105]
	v_add_f64 v[154:155], v[120:121], v[128:129]
	v_add_f64 v[120:121], v[120:121], -v[112:113]
	v_add_f64 v[112:113], v[112:113], v[136:137]
	v_add_f64 v[136:137], v[80:81], -v[92:93]
	v_fma_f64 v[160:161], v[162:163], s[14:15], v[156:157]
	v_fma_f64 v[154:155], v[154:155], -0.5, v[102:103]
	v_add_f64 v[120:121], v[120:121], v[122:123]
	v_fma_f64 v[112:113], v[112:113], -0.5, v[102:103]
	s_delay_alu instid0(VALU_DEP_4)
	v_fma_f64 v[166:167], v[158:159], s[0:1], v[160:161]
	v_add_f64 v[160:161], v[118:119], -v[126:127]
	v_fma_f64 v[193:194], v[164:165], s[12:13], v[154:155]
	v_add_f64 v[118:119], v[118:119], -v[110:111]
	v_add_f64 v[110:111], v[110:111], v[134:135]
	v_fma_f64 v[166:167], v[152:153], s[16:17], v[166:167]
	s_delay_alu instid0(VALU_DEP_4) | instskip(NEXT) | instid1(VALU_DEP_3)
	v_fma_f64 v[193:194], v[160:161], s[10:11], v[193:194]
	v_fma_f64 v[110:111], v[110:111], -0.5, v[104:105]
	v_fma_f64 v[104:105], v[160:161], s[14:15], v[112:113]
	v_fma_f64 v[112:113], v[160:161], s[12:13], v[112:113]
	v_mul_f64 v[195:196], v[166:167], s[10:11]
	v_mul_f64 v[166:167], v[166:167], s[18:19]
	v_fma_f64 v[193:194], v[150:151], s[16:17], v[193:194]
	v_fma_f64 v[102:103], v[158:159], s[12:13], v[110:111]
	;; [unrolled: 1-line block ×6, first 2 shown]
	v_add_f64 v[166:167], v[116:117], -v[124:125]
	v_add_f64 v[116:117], v[124:125], -v[132:133]
	v_add_f64 v[124:125], v[126:127], -v[134:135]
	v_fma_f64 v[102:103], v[162:163], s[0:1], v[102:103]
	v_fma_f64 v[104:105], v[120:121], s[16:17], v[104:105]
	;; [unrolled: 1-line block ×7, first 2 shown]
	v_add_f64 v[132:133], v[82:83], -v[86:87]
	v_add_f64 v[134:135], v[72:73], -v[100:101]
	v_add_f64 v[116:117], v[108:109], v[116:117]
	v_add_f64 v[118:119], v[118:119], v[124:125]
	v_fma_f64 v[193:194], v[166:167], s[10:11], v[193:194]
	v_fma_f64 v[195:196], v[205:206], s[0:1], v[195:196]
	s_delay_alu instid0(VALU_DEP_3) | instskip(SKIP_1) | instid1(VALU_DEP_4)
	v_fma_f64 v[102:103], v[118:119], s[16:17], v[102:103]
	v_fma_f64 v[110:111], v[118:119], s[16:17], v[110:111]
	;; [unrolled: 1-line block ×3, first 2 shown]
	s_delay_alu instid0(VALU_DEP_4) | instskip(NEXT) | instid1(VALU_DEP_4)
	v_fma_f64 v[209:210], v[148:149], s[16:17], v[195:196]
	v_mul_f64 v[106:107], v[102:103], s[12:13]
	v_mul_f64 v[102:103], v[102:103], s[16:17]
	;; [unrolled: 1-line block ×4, first 2 shown]
	v_add_f64 v[193:194], v[207:208], v[197:198]
	v_add_f64 v[195:196], v[209:210], v[199:200]
	v_add_f64 v[197:198], v[207:208], -v[197:198]
	v_add_f64 v[199:200], v[209:210], -v[199:200]
	v_fma_f64 v[106:107], v[104:105], s[16:17], v[106:107]
	v_fma_f64 v[108:109], v[104:105], s[14:15], v[102:103]
	;; [unrolled: 1-line block ×6, first 2 shown]
	s_delay_alu instid0(VALU_DEP_4) | instskip(NEXT) | instid1(VALU_DEP_4)
	v_fma_f64 v[102:103], v[201:202], s[10:11], v[102:103]
	v_fma_f64 v[104:105], v[203:204], s[0:1], v[104:105]
	s_delay_alu instid0(VALU_DEP_2) | instskip(NEXT) | instid1(VALU_DEP_2)
	v_fma_f64 v[122:123], v[114:115], s[16:17], v[102:103]
	v_fma_f64 v[124:125], v[116:117], s[16:17], v[104:105]
	s_delay_alu instid0(VALU_DEP_2) | instskip(SKIP_2) | instid1(VALU_DEP_4)
	v_add_f64 v[102:103], v[122:123], v[106:107]
	v_add_f64 v[106:107], v[122:123], -v[106:107]
	v_fma_f64 v[122:123], v[166:167], s[12:13], v[142:143]
	v_add_f64 v[104:105], v[124:125], v[108:109]
	v_add_f64 v[108:109], v[124:125], -v[108:109]
	v_fma_f64 v[124:125], v[164:165], s[14:15], v[154:155]
	s_delay_alu instid0(VALU_DEP_4) | instskip(NEXT) | instid1(VALU_DEP_2)
	v_fma_f64 v[122:123], v[201:202], s[0:1], v[122:123]
	v_fma_f64 v[124:125], v[160:161], s[0:1], v[124:125]
	s_delay_alu instid0(VALU_DEP_2) | instskip(SKIP_1) | instid1(VALU_DEP_2)
	v_fma_f64 v[114:115], v[114:115], s[16:17], v[122:123]
	v_fma_f64 v[122:123], v[205:206], s[14:15], v[144:145]
	v_add_f64 v[110:111], v[114:115], v[118:119]
	s_delay_alu instid0(VALU_DEP_2) | instskip(SKIP_2) | instid1(VALU_DEP_3)
	v_fma_f64 v[122:123], v[203:204], s[10:11], v[122:123]
	v_add_f64 v[114:115], v[114:115], -v[118:119]
	v_fma_f64 v[118:119], v[162:163], s[12:13], v[156:157]
	v_fma_f64 v[116:117], v[116:117], s[16:17], v[122:123]
	;; [unrolled: 1-line block ×3, first 2 shown]
	s_delay_alu instid0(VALU_DEP_3) | instskip(SKIP_1) | instid1(VALU_DEP_4)
	v_fma_f64 v[118:119], v[158:159], s[10:11], v[118:119]
	v_add_f64 v[140:141], v[78:79], -v[90:91]
	v_add_f64 v[112:113], v[116:117], v[120:121]
	v_add_f64 v[116:117], v[116:117], -v[120:121]
	v_fma_f64 v[120:121], v[201:202], s[14:15], v[138:139]
	v_fma_f64 v[122:123], v[205:206], s[10:11], v[122:123]
	;; [unrolled: 1-line block ×3, first 2 shown]
	v_add_f64 v[138:139], v[70:71], -v[98:99]
	s_delay_alu instid0(VALU_DEP_4) | instskip(NEXT) | instid1(VALU_DEP_4)
	v_fma_f64 v[120:121], v[166:167], s[0:1], v[120:121]
	v_fma_f64 v[128:129], v[148:149], s[16:17], v[122:123]
	s_delay_alu instid0(VALU_DEP_4) | instskip(SKIP_1) | instid1(VALU_DEP_4)
	v_mul_f64 v[122:123], v[118:119], s[10:11]
	v_mul_f64 v[118:119], v[118:119], s[22:23]
	v_fma_f64 v[126:127], v[146:147], s[16:17], v[120:121]
	v_fma_f64 v[120:121], v[150:151], s[16:17], v[124:125]
	s_delay_alu instid0(VALU_DEP_1) | instskip(NEXT) | instid1(VALU_DEP_4)
	v_fma_f64 v[122:123], v[120:121], s[22:23], v[122:123]
	v_fma_f64 v[124:125], v[120:121], s[0:1], v[118:119]
	s_delay_alu instid0(VALU_DEP_2) | instskip(NEXT) | instid1(VALU_DEP_2)
	v_add_f64 v[118:119], v[126:127], v[122:123]
	v_add_f64 v[120:121], v[128:129], v[124:125]
	v_add_f64 v[122:123], v[126:127], -v[122:123]
	v_add_f64 v[124:125], v[128:129], -v[124:125]
	v_and_b32_e32 v126, 0xffff, v188
	v_lshlrev_b32_e32 v127, 4, v187
	v_add_f64 v[128:129], v[84:85], -v[88:89]
	s_delay_alu instid0(VALU_DEP_3) | instskip(NEXT) | instid1(VALU_DEP_1)
	v_mul_u32_u24_e32 v126, 0x5a0, v126
	v_add3_u32 v126, 0, v126, v127
	ds_store_b128 v126, v[12:15]
	ds_store_b128 v126, v[193:196] offset:144
	ds_store_b128 v126, v[102:105] offset:288
	ds_store_b128 v126, v[110:113] offset:432
	ds_store_b128 v126, v[8:11] offset:720
	ds_store_b128 v126, v[118:121] offset:576
	ds_store_b128 v126, v[197:200] offset:864
	ds_store_b128 v126, v[106:109] offset:1008
	ds_store_b128 v126, v[114:117] offset:1152
	ds_store_b128 v126, v[122:125] offset:1296
	v_add_f64 v[8:9], v[78:79], v[90:91]
	v_add_f64 v[10:11], v[68:69], v[74:75]
	v_add_f64 v[126:127], v[76:77], -v[96:97]
	s_delay_alu instid0(VALU_DEP_3) | instskip(SKIP_1) | instid1(VALU_DEP_4)
	v_fma_f64 v[106:107], v[8:9], -0.5, v[4:5]
	v_add_f64 v[8:9], v[70:71], v[98:99]
	v_add_f64 v[10:11], v[10:11], v[82:83]
	s_delay_alu instid0(VALU_DEP_2) | instskip(SKIP_2) | instid1(VALU_DEP_4)
	v_fma_f64 v[108:109], v[8:9], -0.5, v[4:5]
	v_add_f64 v[8:9], v[80:81], v[92:93]
	v_add_f64 v[4:5], v[4:5], v[70:71]
	;; [unrolled: 1-line block ×3, first 2 shown]
	s_delay_alu instid0(VALU_DEP_3) | instskip(SKIP_1) | instid1(VALU_DEP_4)
	v_fma_f64 v[110:111], v[8:9], -0.5, v[6:7]
	v_add_f64 v[8:9], v[72:73], v[100:101]
	v_add_f64 v[4:5], v[4:5], v[78:79]
	s_delay_alu instid0(VALU_DEP_4) | instskip(NEXT) | instid1(VALU_DEP_3)
	v_add_f64 v[10:11], v[10:11], v[94:95]
	v_fma_f64 v[112:113], v[8:9], -0.5, v[6:7]
	v_add_f64 v[6:7], v[6:7], v[72:73]
	v_add_f64 v[8:9], v[66:67], v[76:77]
	;; [unrolled: 1-line block ×3, first 2 shown]
	s_delay_alu instid0(VALU_DEP_3) | instskip(NEXT) | instid1(VALU_DEP_3)
	v_add_f64 v[6:7], v[6:7], v[80:81]
	v_add_f64 v[8:9], v[8:9], v[84:85]
	s_delay_alu instid0(VALU_DEP_3) | instskip(NEXT) | instid1(VALU_DEP_3)
	v_add_f64 v[12:13], v[4:5], v[98:99]
	v_add_f64 v[6:7], v[6:7], v[92:93]
	s_delay_alu instid0(VALU_DEP_3) | instskip(NEXT) | instid1(VALU_DEP_2)
	v_add_f64 v[8:9], v[8:9], v[88:89]
	v_add_f64 v[14:15], v[6:7], v[100:101]
	s_delay_alu instid0(VALU_DEP_2) | instskip(NEXT) | instid1(VALU_DEP_2)
	v_add_f64 v[8:9], v[8:9], v[96:97]
	v_add_f64 v[6:7], v[14:15], v[10:11]
	s_delay_alu instid0(VALU_DEP_2)
	v_add_f64 v[4:5], v[12:13], v[8:9]
	v_add_f64 v[8:9], v[12:13], -v[8:9]
	v_add_f64 v[10:11], v[14:15], -v[10:11]
	;; [unrolled: 1-line block ×7, first 2 shown]
	s_delay_alu instid0(VALU_DEP_4)
	v_add_f64 v[114:115], v[12:13], v[14:15]
	v_add_f64 v[12:13], v[72:73], -v[80:81]
	v_add_f64 v[14:15], v[100:101], -v[92:93]
	;; [unrolled: 1-line block ×4, first 2 shown]
	v_add_f64 v[78:79], v[70:71], v[78:79]
	v_add_f64 v[100:101], v[28:29], -v[36:37]
	v_add_f64 v[116:117], v[12:13], v[14:15]
	v_add_f64 v[12:13], v[76:77], -v[84:85]
	v_add_f64 v[14:15], v[96:97], -v[88:89]
	v_add_f64 v[80:81], v[72:73], v[80:81]
	s_delay_alu instid0(VALU_DEP_2) | instskip(SKIP_2) | instid1(VALU_DEP_1)
	v_add_f64 v[118:119], v[12:13], v[14:15]
	v_add_f64 v[12:13], v[74:75], -v[82:83]
	v_add_f64 v[14:15], v[94:95], -v[86:87]
	v_add_f64 v[120:121], v[12:13], v[14:15]
	v_add_f64 v[12:13], v[82:83], v[86:87]
	v_add_f64 v[82:83], v[82:83], -v[74:75]
	v_add_f64 v[74:75], v[74:75], v[94:95]
	v_add_f64 v[86:87], v[86:87], -v[94:95]
	v_add_f64 v[94:95], v[24:25], -v[62:63]
	v_fma_f64 v[122:123], v[12:13], -0.5, v[68:69]
	v_add_f64 v[12:13], v[84:85], v[88:89]
	v_add_f64 v[84:85], v[84:85], -v[76:77]
	v_add_f64 v[76:77], v[76:77], v[96:97]
	v_fma_f64 v[74:75], v[74:75], -0.5, v[68:69]
	v_add_f64 v[88:89], v[88:89], -v[96:97]
	v_add_f64 v[82:83], v[82:83], v[86:87]
	v_add_f64 v[96:97], v[32:33], -v[40:41]
	v_fma_f64 v[124:125], v[12:13], -0.5, v[66:67]
	v_fma_f64 v[12:13], v[126:127], s[14:15], v[122:123]
	v_fma_f64 v[76:77], v[76:77], -0.5, v[66:67]
	v_fma_f64 v[66:67], v[128:129], s[12:13], v[74:75]
	v_add_f64 v[84:85], v[84:85], v[88:89]
	v_fma_f64 v[74:75], v[128:129], s[14:15], v[74:75]
	v_fma_f64 v[14:15], v[130:131], s[12:13], v[124:125]
	;; [unrolled: 1-line block ×14, first 2 shown]
	v_mul_f64 v[102:103], v[12:13], s[10:11]
	v_fma_f64 v[68:69], v[84:85], s[16:17], v[68:69]
	v_mul_f64 v[70:71], v[66:67], s[12:13]
	v_mul_f64 v[66:67], v[66:67], s[16:17]
	v_fma_f64 v[76:77], v[84:85], s[16:17], v[76:77]
	v_mul_f64 v[82:83], v[74:75], s[12:13]
	v_mul_f64 v[74:75], v[74:75], s[20:21]
	;; [unrolled: 1-line block ×3, first 2 shown]
	v_fma_f64 v[102:103], v[14:15], s[18:19], v[102:103]
	v_fma_f64 v[70:71], v[68:69], s[16:17], v[70:71]
	;; [unrolled: 1-line block ×12, first 2 shown]
	s_delay_alu instid0(VALU_DEP_4) | instskip(NEXT) | instid1(VALU_DEP_4)
	v_fma_f64 v[12:13], v[136:137], s[10:11], v[12:13]
	v_fma_f64 v[14:15], v[140:141], s[0:1], v[14:15]
	s_delay_alu instid0(VALU_DEP_4) | instskip(NEXT) | instid1(VALU_DEP_4)
	v_fma_f64 v[86:87], v[78:79], s[16:17], v[66:67]
	v_fma_f64 v[88:89], v[80:81], s[16:17], v[68:69]
	;; [unrolled: 3-line block ×3, first 2 shown]
	s_delay_alu instid0(VALU_DEP_4)
	v_add_f64 v[66:67], v[86:87], v[70:71]
	v_add_f64 v[70:71], v[86:87], -v[70:71]
	v_fma_f64 v[86:87], v[136:137], s[12:13], v[108:109]
	v_add_f64 v[68:69], v[88:89], v[72:73]
	v_add_f64 v[72:73], v[88:89], -v[72:73]
	v_fma_f64 v[88:89], v[130:131], s[14:15], v[124:125]
	v_add_f64 v[12:13], v[142:143], v[102:103]
	v_add_f64 v[14:15], v[144:145], v[104:105]
	v_add_f64 v[102:103], v[142:143], -v[102:103]
	v_add_f64 v[104:105], v[144:145], -v[104:105]
	v_fma_f64 v[86:87], v[134:135], s[0:1], v[86:87]
	v_fma_f64 v[88:89], v[132:133], s[0:1], v[88:89]
	s_delay_alu instid0(VALU_DEP_2) | instskip(SKIP_1) | instid1(VALU_DEP_2)
	v_fma_f64 v[78:79], v[78:79], s[16:17], v[86:87]
	v_fma_f64 v[86:87], v[140:141], s[14:15], v[112:113]
	v_add_f64 v[74:75], v[78:79], v[82:83]
	s_delay_alu instid0(VALU_DEP_2) | instskip(SKIP_2) | instid1(VALU_DEP_3)
	v_fma_f64 v[86:87], v[138:139], s[10:11], v[86:87]
	v_add_f64 v[78:79], v[78:79], -v[82:83]
	v_fma_f64 v[82:83], v[126:127], s[12:13], v[122:123]
	v_fma_f64 v[80:81], v[80:81], s[16:17], v[86:87]
	;; [unrolled: 1-line block ×3, first 2 shown]
	s_delay_alu instid0(VALU_DEP_3) | instskip(NEXT) | instid1(VALU_DEP_3)
	v_fma_f64 v[82:83], v[128:129], s[10:11], v[82:83]
	v_add_f64 v[76:77], v[80:81], v[84:85]
	v_add_f64 v[80:81], v[80:81], -v[84:85]
	v_fma_f64 v[84:85], v[134:135], s[14:15], v[106:107]
	v_fma_f64 v[86:87], v[140:141], s[10:11], v[86:87]
	;; [unrolled: 1-line block ×3, first 2 shown]
	s_delay_alu instid0(VALU_DEP_3) | instskip(NEXT) | instid1(VALU_DEP_3)
	v_fma_f64 v[84:85], v[136:137], s[0:1], v[84:85]
	v_fma_f64 v[92:93], v[116:117], s[16:17], v[86:87]
	s_delay_alu instid0(VALU_DEP_3) | instskip(SKIP_1) | instid1(VALU_DEP_4)
	v_mul_f64 v[86:87], v[82:83], s[10:11]
	v_mul_f64 v[82:83], v[82:83], s[22:23]
	v_fma_f64 v[90:91], v[114:115], s[16:17], v[84:85]
	v_fma_f64 v[84:85], v[118:119], s[16:17], v[88:89]
	s_delay_alu instid0(VALU_DEP_1) | instskip(NEXT) | instid1(VALU_DEP_4)
	v_fma_f64 v[86:87], v[84:85], s[22:23], v[86:87]
	v_fma_f64 v[88:89], v[84:85], s[0:1], v[82:83]
	s_delay_alu instid0(VALU_DEP_2) | instskip(NEXT) | instid1(VALU_DEP_2)
	v_add_f64 v[82:83], v[90:91], v[86:87]
	v_add_f64 v[84:85], v[92:93], v[88:89]
	v_add_f64 v[86:87], v[90:91], -v[86:87]
	v_add_f64 v[88:89], v[92:93], -v[88:89]
	v_and_b32_e32 v90, 0xffff, v191
	v_lshlrev_b32_e32 v91, 4, v192
	v_add_f64 v[92:93], v[30:31], -v[38:39]
	s_delay_alu instid0(VALU_DEP_3) | instskip(NEXT) | instid1(VALU_DEP_1)
	v_mul_u32_u24_e32 v90, 0x5a0, v90
	v_add3_u32 v90, 0, v90, v91
	ds_store_b128 v90, v[4:7]
	ds_store_b128 v90, v[12:15] offset:144
	ds_store_b128 v90, v[66:69] offset:288
	;; [unrolled: 1-line block ×9, first 2 shown]
	v_add_f64 v[4:5], v[28:29], v[36:37]
	v_add_f64 v[6:7], v[18:19], v[22:23]
	v_add_f64 v[90:91], v[22:23], -v[46:47]
	v_add_f64 v[86:87], v[26:27], -v[64:65]
	;; [unrolled: 1-line block ×3, first 2 shown]
	v_fma_f64 v[66:67], v[4:5], -0.5, v[0:1]
	v_add_f64 v[4:5], v[20:21], v[44:45]
	v_add_f64 v[6:7], v[6:7], v[30:31]
	s_delay_alu instid0(VALU_DEP_2) | instskip(SKIP_2) | instid1(VALU_DEP_4)
	v_fma_f64 v[68:69], v[4:5], -0.5, v[0:1]
	v_add_f64 v[4:5], v[32:33], v[40:41]
	v_add_f64 v[0:1], v[0:1], v[20:21]
	v_add_f64 v[6:7], v[6:7], v[38:39]
	s_delay_alu instid0(VALU_DEP_3) | instskip(SKIP_1) | instid1(VALU_DEP_4)
	v_fma_f64 v[70:71], v[4:5], -0.5, v[2:3]
	v_add_f64 v[4:5], v[24:25], v[62:63]
	v_add_f64 v[0:1], v[0:1], v[28:29]
	s_delay_alu instid0(VALU_DEP_4) | instskip(NEXT) | instid1(VALU_DEP_3)
	v_add_f64 v[6:7], v[6:7], v[46:47]
	v_fma_f64 v[72:73], v[4:5], -0.5, v[2:3]
	v_add_f64 v[2:3], v[2:3], v[24:25]
	v_add_f64 v[4:5], v[16:17], v[26:27]
	;; [unrolled: 1-line block ×3, first 2 shown]
	s_delay_alu instid0(VALU_DEP_3) | instskip(NEXT) | instid1(VALU_DEP_3)
	v_add_f64 v[2:3], v[2:3], v[32:33]
	v_add_f64 v[4:5], v[4:5], v[34:35]
	s_delay_alu instid0(VALU_DEP_3) | instskip(NEXT) | instid1(VALU_DEP_3)
	v_add_f64 v[8:9], v[0:1], v[44:45]
	v_add_f64 v[2:3], v[2:3], v[40:41]
	s_delay_alu instid0(VALU_DEP_3) | instskip(NEXT) | instid1(VALU_DEP_2)
	v_add_f64 v[4:5], v[4:5], v[42:43]
	v_add_f64 v[10:11], v[2:3], v[62:63]
	s_delay_alu instid0(VALU_DEP_2) | instskip(NEXT) | instid1(VALU_DEP_2)
	v_add_f64 v[4:5], v[4:5], v[64:65]
	v_add_f64 v[2:3], v[10:11], v[6:7]
	s_delay_alu instid0(VALU_DEP_2)
	v_add_f64 v[0:1], v[8:9], v[4:5]
	v_add_f64 v[4:5], v[8:9], -v[4:5]
	v_add_f64 v[6:7], v[10:11], -v[6:7]
	v_add_f64 v[8:9], v[20:21], -v[28:29]
	v_add_f64 v[10:11], v[44:45], -v[36:37]
	v_add_f64 v[20:21], v[28:29], -v[20:21]
	v_add_f64 v[28:29], v[36:37], -v[44:45]
	v_add_f64 v[36:37], v[38:39], -v[46:47]
	s_delay_alu instid0(VALU_DEP_4)
	v_add_f64 v[74:75], v[8:9], v[10:11]
	v_add_f64 v[8:9], v[24:25], -v[32:33]
	v_add_f64 v[10:11], v[62:63], -v[40:41]
	;; [unrolled: 1-line block ×5, first 2 shown]
	v_add_f64 v[28:29], v[20:21], v[28:29]
	v_add_f64 v[76:77], v[8:9], v[10:11]
	v_add_f64 v[8:9], v[26:27], -v[34:35]
	v_add_f64 v[10:11], v[64:65], -v[42:43]
	v_add_f64 v[24:25], v[24:25], v[32:33]
	s_delay_alu instid0(VALU_DEP_2) | instskip(SKIP_2) | instid1(VALU_DEP_1)
	v_add_f64 v[78:79], v[8:9], v[10:11]
	v_add_f64 v[8:9], v[22:23], -v[30:31]
	v_add_f64 v[10:11], v[46:47], -v[38:39]
	v_add_f64 v[80:81], v[8:9], v[10:11]
	v_add_f64 v[8:9], v[30:31], v[38:39]
	v_add_f64 v[30:31], v[30:31], -v[22:23]
	v_add_f64 v[22:23], v[22:23], v[46:47]
	s_delay_alu instid0(VALU_DEP_3)
	v_fma_f64 v[82:83], v[8:9], -0.5, v[18:19]
	v_add_f64 v[8:9], v[34:35], v[42:43]
	v_add_f64 v[34:35], v[34:35], -v[26:27]
	v_add_f64 v[26:27], v[26:27], v[64:65]
	v_fma_f64 v[38:39], v[22:23], -0.5, v[18:19]
	v_add_f64 v[30:31], v[30:31], v[36:37]
	v_fma_f64 v[84:85], v[8:9], -0.5, v[16:17]
	;; [unrolled: 2-line block ×3, first 2 shown]
	v_fma_f64 v[16:17], v[88:89], s[12:13], v[38:39]
	v_fma_f64 v[8:9], v[86:87], s[14:15], v[82:83]
	v_fma_f64 v[10:11], v[90:91], s[12:13], v[84:85]
	s_delay_alu instid0(VALU_DEP_4) | instskip(NEXT) | instid1(VALU_DEP_4)
	v_fma_f64 v[18:19], v[92:93], s[14:15], v[26:27]
	v_fma_f64 v[16:17], v[86:87], s[0:1], v[16:17]
	;; [unrolled: 1-line block ×11, first 2 shown]
	v_mul_f64 v[20:21], v[16:17], s[12:13]
	v_mul_f64 v[16:17], v[16:17], s[16:17]
	v_fma_f64 v[26:27], v[32:33], s[16:17], v[26:27]
	v_mul_f64 v[12:13], v[8:9], s[10:11]
	v_mul_f64 v[8:9], v[8:9], s[18:19]
	v_fma_f64 v[20:21], v[18:19], s[16:17], v[20:21]
	v_fma_f64 v[22:23], v[18:19], s[14:15], v[16:17]
	;; [unrolled: 1-line block ×10, first 2 shown]
	s_delay_alu instid0(VALU_DEP_4) | instskip(NEXT) | instid1(VALU_DEP_4)
	v_fma_f64 v[8:9], v[96:97], s[10:11], v[8:9]
	v_fma_f64 v[10:11], v[100:101], s[0:1], v[10:11]
	s_delay_alu instid0(VALU_DEP_4) | instskip(NEXT) | instid1(VALU_DEP_4)
	v_fma_f64 v[34:35], v[28:29], s[16:17], v[16:17]
	v_fma_f64 v[36:37], v[24:25], s[16:17], v[18:19]
	;; [unrolled: 3-line block ×3, first 2 shown]
	s_delay_alu instid0(VALU_DEP_4)
	v_add_f64 v[16:17], v[34:35], v[20:21]
	v_add_f64 v[20:21], v[34:35], -v[20:21]
	v_fma_f64 v[34:35], v[96:97], s[12:13], v[68:69]
	v_add_f64 v[18:19], v[36:37], v[22:23]
	v_add_f64 v[22:23], v[36:37], -v[22:23]
	v_fma_f64 v[36:37], v[98:99], s[12:13], v[70:71]
	v_add_f64 v[8:9], v[102:103], v[12:13]
	v_add_f64 v[10:11], v[104:105], v[14:15]
	v_add_f64 v[12:13], v[102:103], -v[12:13]
	v_add_f64 v[14:15], v[104:105], -v[14:15]
	v_fma_f64 v[34:35], v[94:95], s[0:1], v[34:35]
	v_fma_f64 v[36:37], v[100:101], s[10:11], v[36:37]
	s_delay_alu instid0(VALU_DEP_2) | instskip(SKIP_1) | instid1(VALU_DEP_3)
	v_fma_f64 v[28:29], v[28:29], s[16:17], v[34:35]
	v_fma_f64 v[34:35], v[100:101], s[14:15], v[72:73]
	;; [unrolled: 1-line block ×3, first 2 shown]
	s_delay_alu instid0(VALU_DEP_2) | instskip(NEXT) | instid1(VALU_DEP_1)
	v_fma_f64 v[34:35], v[98:99], s[10:11], v[34:35]
	v_fma_f64 v[34:35], v[24:25], s[16:17], v[34:35]
	;; [unrolled: 1-line block ×4, first 2 shown]
	s_delay_alu instid0(VALU_DEP_2) | instskip(NEXT) | instid1(VALU_DEP_2)
	v_fma_f64 v[24:25], v[86:87], s[10:11], v[24:25]
	v_fma_f64 v[38:39], v[92:93], s[0:1], v[38:39]
	s_delay_alu instid0(VALU_DEP_2) | instskip(NEXT) | instid1(VALU_DEP_1)
	v_fma_f64 v[24:25], v[30:31], s[16:17], v[24:25]
	v_mul_f64 v[30:31], v[24:25], s[12:13]
	v_mul_f64 v[24:25], v[24:25], s[20:21]
	s_delay_alu instid0(VALU_DEP_2) | instskip(NEXT) | instid1(VALU_DEP_2)
	v_fma_f64 v[30:31], v[26:27], s[20:21], v[30:31]
	v_fma_f64 v[32:33], v[26:27], s[14:15], v[24:25]
	s_delay_alu instid0(VALU_DEP_2) | instskip(NEXT) | instid1(VALU_DEP_2)
	v_add_f64 v[24:25], v[28:29], v[30:31]
	v_add_f64 v[26:27], v[34:35], v[32:33]
	v_add_f64 v[28:29], v[28:29], -v[30:31]
	v_add_f64 v[30:31], v[34:35], -v[32:33]
	v_fma_f64 v[32:33], v[86:87], s[12:13], v[82:83]
	v_fma_f64 v[34:35], v[94:95], s[14:15], v[66:67]
	s_delay_alu instid0(VALU_DEP_2) | instskip(NEXT) | instid1(VALU_DEP_2)
	v_fma_f64 v[32:33], v[88:89], s[10:11], v[32:33]
	v_fma_f64 v[34:35], v[96:97], s[0:1], v[34:35]
	s_delay_alu instid0(VALU_DEP_2) | instskip(NEXT) | instid1(VALU_DEP_2)
	v_fma_f64 v[32:33], v[80:81], s[16:17], v[32:33]
	v_fma_f64 v[40:41], v[74:75], s[16:17], v[34:35]
	;; [unrolled: 1-line block ×3, first 2 shown]
	s_delay_alu instid0(VALU_DEP_3) | instskip(SKIP_1) | instid1(VALU_DEP_2)
	v_mul_f64 v[36:37], v[32:33], s[10:11]
	v_mul_f64 v[32:33], v[32:33], s[22:23]
	v_fma_f64 v[36:37], v[34:35], s[22:23], v[36:37]
	s_delay_alu instid0(VALU_DEP_2) | instskip(SKIP_2) | instid1(VALU_DEP_3)
	v_fma_f64 v[38:39], v[34:35], s[0:1], v[32:33]
	v_cmp_gt_u32_e64 s0, 0x5a, v48
	s_add_u32 s1, s4, 0xca50
	v_add_f64 v[32:33], v[40:41], v[36:37]
	s_delay_alu instid0(VALU_DEP_3) | instskip(SKIP_4) | instid1(VALU_DEP_1)
	v_add_f64 v[34:35], v[42:43], v[38:39]
	v_add_f64 v[36:37], v[40:41], -v[36:37]
	v_add_f64 v[38:39], v[42:43], -v[38:39]
	v_mul_u32_u24_e32 v40, 0x5a0, v189
	v_lshlrev_b32_e32 v41, 4, v190
	v_add3_u32 v40, 0, v40, v41
	ds_store_b128 v40, v[0:3]
	ds_store_b128 v40, v[8:11] offset:144
	ds_store_b128 v40, v[16:19] offset:288
	;; [unrolled: 1-line block ×9, first 2 shown]
	v_mov_b32_e32 v16, 0
	v_add_nc_u32_e32 v0, 0xffffffa6, v48
	s_waitcnt lgkmcnt(0)
	s_barrier
	buffer_gl0_inv
	v_cndmask_b32_e64 v47, v0, v48, s0
	s_delay_alu instid0(VALU_DEP_1) | instskip(SKIP_1) | instid1(VALU_DEP_2)
	v_mul_i32_i24_e32 v15, 5, v47
	v_lshlrev_b32_e32 v47, 4, v47
	v_lshlrev_b64 v[0:1], 4, v[15:16]
	s_delay_alu instid0(VALU_DEP_1) | instskip(NEXT) | instid1(VALU_DEP_1)
	v_add_co_u32 v17, s0, s4, v0
	v_add_co_ci_u32_e64 v18, s0, s5, v1, s0
	s_clause 0x1
	global_load_b128 v[4:7], v[17:18], off offset:1392
	global_load_b128 v[0:3], v[17:18], off offset:1408
	ds_load_b128 v[12:15], v182
	ds_load_b128 v[8:11], v175
	v_cmp_lt_u32_e64 s0, 0x59, v48
	s_waitcnt vmcnt(1) lgkmcnt(1)
	v_mul_f64 v[19:20], v[14:15], v[6:7]
	v_mul_f64 v[6:7], v[12:13], v[6:7]
	s_delay_alu instid0(VALU_DEP_2) | instskip(NEXT) | instid1(VALU_DEP_2)
	v_fma_f64 v[126:127], v[12:13], v[4:5], v[19:20]
	v_fma_f64 v[124:125], v[14:15], v[4:5], -v[6:7]
	ds_load_b128 v[4:7], v168 offset:17280
	ds_load_b128 v[12:15], v168 offset:19008
	s_waitcnt vmcnt(0) lgkmcnt(1)
	v_mul_f64 v[19:20], v[6:7], v[2:3]
	v_mul_f64 v[2:3], v[4:5], v[2:3]
	s_delay_alu instid0(VALU_DEP_2) | instskip(NEXT) | instid1(VALU_DEP_2)
	v_fma_f64 v[136:137], v[4:5], v[0:1], v[19:20]
	v_fma_f64 v[138:139], v[6:7], v[0:1], -v[2:3]
	s_clause 0x1
	global_load_b128 v[0:3], v[17:18], off offset:1424
	global_load_b128 v[4:7], v[17:18], off offset:1440
	ds_load_b128 v[19:22], v168 offset:25920
	ds_load_b128 v[23:26], v168 offset:24192
	s_waitcnt vmcnt(1) lgkmcnt(1)
	v_mul_f64 v[27:28], v[21:22], v[2:3]
	v_mul_f64 v[2:3], v[19:20], v[2:3]
	s_delay_alu instid0(VALU_DEP_2) | instskip(NEXT) | instid1(VALU_DEP_2)
	v_fma_f64 v[140:141], v[19:20], v[0:1], v[27:28]
	v_fma_f64 v[142:143], v[21:22], v[0:1], -v[2:3]
	ds_load_b128 v[0:3], v168 offset:34560
	ds_load_b128 v[29:32], v168 offset:32832
	s_waitcnt vmcnt(0) lgkmcnt(1)
	v_mul_f64 v[19:20], v[2:3], v[6:7]
	s_delay_alu instid0(VALU_DEP_1) | instskip(SKIP_1) | instid1(VALU_DEP_1)
	v_fma_f64 v[144:145], v[0:1], v[4:5], v[19:20]
	v_mul_f64 v[0:1], v[0:1], v[6:7]
	v_fma_f64 v[146:147], v[2:3], v[4:5], -v[0:1]
	v_mul_lo_u16 v0, 0xb7, v186
	s_delay_alu instid0(VALU_DEP_1) | instskip(NEXT) | instid1(VALU_DEP_1)
	v_lshrrev_b16 v134, 14, v0
	v_mul_lo_u16 v0, 0x5a, v134
	s_delay_alu instid0(VALU_DEP_1) | instskip(NEXT) | instid1(VALU_DEP_1)
	v_sub_nc_u16 v0, v50, v0
	v_and_b32_e32 v135, 0xff, v0
	s_delay_alu instid0(VALU_DEP_1) | instskip(NEXT) | instid1(VALU_DEP_1)
	v_mul_u32_u24_e32 v0, 5, v135
	v_lshlrev_b32_e32 v27, 4, v0
	s_clause 0x1
	global_load_b128 v[0:3], v[17:18], off offset:1456
	global_load_b128 v[4:7], v27, s[4:5] offset:1392
	ds_load_b128 v[17:20], v168 offset:43200
	ds_load_b128 v[33:36], v168 offset:44928
	s_waitcnt vmcnt(1) lgkmcnt(1)
	v_mul_f64 v[21:22], v[19:20], v[2:3]
	v_mul_f64 v[2:3], v[17:18], v[2:3]
	s_delay_alu instid0(VALU_DEP_2) | instskip(NEXT) | instid1(VALU_DEP_2)
	v_fma_f64 v[148:149], v[17:18], v[0:1], v[21:22]
	v_fma_f64 v[150:151], v[19:20], v[0:1], -v[2:3]
	ds_load_b128 v[0:3], v168 offset:10368
	ds_load_b128 v[17:20], v168 offset:12096
	s_waitcnt vmcnt(0) lgkmcnt(1)
	v_mul_f64 v[21:22], v[2:3], v[6:7]
	v_add_f64 v[152:153], v[140:141], v[148:149]
	s_delay_alu instid0(VALU_DEP_2) | instskip(SKIP_1) | instid1(VALU_DEP_1)
	v_fma_f64 v[88:89], v[0:1], v[4:5], v[21:22]
	v_mul_f64 v[0:1], v[0:1], v[6:7]
	v_fma_f64 v[90:91], v[2:3], v[4:5], -v[0:1]
	s_clause 0x1
	global_load_b128 v[0:3], v27, s[4:5] offset:1408
	global_load_b128 v[4:7], v27, s[4:5] offset:1424
	s_waitcnt vmcnt(1)
	v_mul_f64 v[21:22], v[14:15], v[2:3]
	v_mul_f64 v[2:3], v[12:13], v[2:3]
	s_delay_alu instid0(VALU_DEP_2) | instskip(NEXT) | instid1(VALU_DEP_2)
	v_fma_f64 v[92:93], v[12:13], v[0:1], v[21:22]
	v_fma_f64 v[94:95], v[14:15], v[0:1], -v[2:3]
	ds_load_b128 v[0:3], v168 offset:27648
	ds_load_b128 v[12:15], v168 offset:29376
	s_waitcnt vmcnt(0) lgkmcnt(1)
	v_mul_f64 v[21:22], v[2:3], v[6:7]
	s_delay_alu instid0(VALU_DEP_1) | instskip(SKIP_1) | instid1(VALU_DEP_1)
	v_fma_f64 v[102:103], v[0:1], v[4:5], v[21:22]
	v_mul_f64 v[0:1], v[0:1], v[6:7]
	v_fma_f64 v[98:99], v[2:3], v[4:5], -v[0:1]
	s_clause 0x1
	global_load_b128 v[0:3], v27, s[4:5] offset:1440
	global_load_b128 v[4:7], v27, s[4:5] offset:1456
	ds_load_b128 v[37:40], v168 offset:36288
	ds_load_b128 v[41:44], v168 offset:38016
	s_waitcnt vmcnt(1) lgkmcnt(1)
	v_mul_f64 v[21:22], v[39:40], v[2:3]
	v_mul_f64 v[2:3], v[37:38], v[2:3]
	s_delay_alu instid0(VALU_DEP_2) | instskip(NEXT) | instid1(VALU_DEP_2)
	v_fma_f64 v[104:105], v[37:38], v[0:1], v[21:22]
	v_fma_f64 v[106:107], v[39:40], v[0:1], -v[2:3]
	s_waitcnt vmcnt(0)
	v_mul_f64 v[0:1], v[35:36], v[6:7]
	s_delay_alu instid0(VALU_DEP_1) | instskip(SKIP_1) | instid1(VALU_DEP_1)
	v_fma_f64 v[110:111], v[33:34], v[4:5], v[0:1]
	v_mul_f64 v[0:1], v[33:34], v[6:7]
	v_fma_f64 v[108:109], v[35:36], v[4:5], -v[0:1]
	v_mul_u32_u24_e32 v0, 0x2d83, v185
	s_delay_alu instid0(VALU_DEP_1) | instskip(NEXT) | instid1(VALU_DEP_1)
	v_lshrrev_b32_e32 v132, 20, v0
	v_mul_lo_u16 v0, 0x5a, v132
	s_delay_alu instid0(VALU_DEP_1) | instskip(NEXT) | instid1(VALU_DEP_1)
	v_sub_nc_u16 v0, v61, v0
	v_and_b32_e32 v133, 0xffff, v0
	s_delay_alu instid0(VALU_DEP_1) | instskip(NEXT) | instid1(VALU_DEP_1)
	v_mul_u32_u24_e32 v0, 5, v133
	v_lshlrev_b32_e32 v27, 4, v0
	s_clause 0x1
	global_load_b128 v[0:3], v27, s[4:5] offset:1392
	global_load_b128 v[4:7], v27, s[4:5] offset:1408
	s_waitcnt vmcnt(1)
	v_mul_f64 v[21:22], v[19:20], v[2:3]
	v_mul_f64 v[2:3], v[17:18], v[2:3]
	s_delay_alu instid0(VALU_DEP_2) | instskip(NEXT) | instid1(VALU_DEP_2)
	v_fma_f64 v[64:65], v[17:18], v[0:1], v[21:22]
	v_fma_f64 v[70:71], v[19:20], v[0:1], -v[2:3]
	ds_load_b128 v[0:3], v168 offset:20736
	ds_load_b128 v[17:20], v168 offset:22464
	s_waitcnt vmcnt(0) lgkmcnt(1)
	v_mul_f64 v[21:22], v[2:3], v[6:7]
	s_delay_alu instid0(VALU_DEP_1) | instskip(SKIP_1) | instid1(VALU_DEP_1)
	v_fma_f64 v[74:75], v[0:1], v[4:5], v[21:22]
	v_mul_f64 v[0:1], v[0:1], v[6:7]
	v_fma_f64 v[76:77], v[2:3], v[4:5], -v[0:1]
	s_clause 0x1
	global_load_b128 v[0:3], v27, s[4:5] offset:1424
	global_load_b128 v[4:7], v27, s[4:5] offset:1440
	s_waitcnt vmcnt(1)
	v_mul_f64 v[21:22], v[14:15], v[2:3]
	v_mul_f64 v[2:3], v[12:13], v[2:3]
	s_delay_alu instid0(VALU_DEP_2) | instskip(NEXT) | instid1(VALU_DEP_2)
	v_fma_f64 v[82:83], v[12:13], v[0:1], v[21:22]
	v_fma_f64 v[80:81], v[14:15], v[0:1], -v[2:3]
	s_waitcnt vmcnt(0)
	v_mul_f64 v[0:1], v[43:44], v[6:7]
	s_delay_alu instid0(VALU_DEP_1) | instskip(SKIP_1) | instid1(VALU_DEP_1)
	v_fma_f64 v[84:85], v[41:42], v[4:5], v[0:1]
	v_mul_f64 v[0:1], v[41:42], v[6:7]
	v_fma_f64 v[86:87], v[43:44], v[4:5], -v[0:1]
	v_mul_u32_u24_e32 v0, 0x2d83, v184
	s_delay_alu instid0(VALU_DEP_1) | instskip(NEXT) | instid1(VALU_DEP_1)
	v_lshrrev_b32_e32 v130, 20, v0
	v_mul_lo_u16 v0, 0x5a, v130
	s_delay_alu instid0(VALU_DEP_1) | instskip(NEXT) | instid1(VALU_DEP_1)
	v_sub_nc_u16 v0, v60, v0
	v_and_b32_e32 v131, 0xffff, v0
	s_delay_alu instid0(VALU_DEP_1) | instskip(NEXT) | instid1(VALU_DEP_1)
	v_mul_u32_u24_e32 v0, 5, v131
	v_lshlrev_b32_e32 v28, 4, v0
	s_clause 0x1
	global_load_b128 v[0:3], v27, s[4:5] offset:1456
	global_load_b128 v[4:7], v28, s[4:5] offset:1392
	ds_load_b128 v[12:15], v168 offset:46656
	ds_load_b128 v[112:115], v168 offset:48384
	s_waitcnt vmcnt(1) lgkmcnt(1)
	v_mul_f64 v[21:22], v[14:15], v[2:3]
	v_mul_f64 v[2:3], v[12:13], v[2:3]
	s_delay_alu instid0(VALU_DEP_2) | instskip(NEXT) | instid1(VALU_DEP_2)
	v_fma_f64 v[100:101], v[12:13], v[0:1], v[21:22]
	v_fma_f64 v[96:97], v[14:15], v[0:1], -v[2:3]
	ds_load_b128 v[0:3], v168 offset:13824
	ds_load_b128 v[12:15], v168 offset:15552
	s_waitcnt vmcnt(0) lgkmcnt(1)
	v_mul_f64 v[21:22], v[2:3], v[6:7]
	s_delay_alu instid0(VALU_DEP_1) | instskip(SKIP_1) | instid1(VALU_DEP_1)
	v_fma_f64 v[33:34], v[0:1], v[4:5], v[21:22]
	v_mul_f64 v[0:1], v[0:1], v[6:7]
	v_fma_f64 v[37:38], v[2:3], v[4:5], -v[0:1]
	s_clause 0x1
	global_load_b128 v[0:3], v28, s[4:5] offset:1408
	global_load_b128 v[4:7], v28, s[4:5] offset:1424
	s_waitcnt vmcnt(1)
	v_mul_f64 v[21:22], v[19:20], v[2:3]
	v_mul_f64 v[2:3], v[17:18], v[2:3]
	s_delay_alu instid0(VALU_DEP_2) | instskip(NEXT) | instid1(VALU_DEP_2)
	v_fma_f64 v[41:42], v[17:18], v[0:1], v[21:22]
	v_fma_f64 v[43:44], v[19:20], v[0:1], -v[2:3]
	ds_load_b128 v[17:20], v168 offset:31104
	ds_load_b128 v[0:3], v174
	s_waitcnt vmcnt(0) lgkmcnt(1)
	v_mul_f64 v[21:22], v[19:20], v[6:7]
	v_mul_f64 v[6:7], v[17:18], v[6:7]
	s_delay_alu instid0(VALU_DEP_2) | instskip(NEXT) | instid1(VALU_DEP_2)
	v_fma_f64 v[62:63], v[17:18], v[4:5], v[21:22]
	v_fma_f64 v[45:46], v[19:20], v[4:5], -v[6:7]
	s_clause 0x1
	global_load_b128 v[4:7], v28, s[4:5] offset:1440
	global_load_b128 v[17:20], v28, s[4:5] offset:1456
	ds_load_b128 v[116:119], v168 offset:39744
	ds_load_b128 v[120:123], v168 offset:41472
	s_waitcnt vmcnt(1) lgkmcnt(1)
	v_mul_f64 v[21:22], v[118:119], v[6:7]
	v_mul_f64 v[6:7], v[116:117], v[6:7]
	s_delay_alu instid0(VALU_DEP_2) | instskip(NEXT) | instid1(VALU_DEP_2)
	v_fma_f64 v[66:67], v[116:117], v[4:5], v[21:22]
	v_fma_f64 v[68:69], v[118:119], v[4:5], -v[6:7]
	s_waitcnt vmcnt(0)
	v_mul_f64 v[4:5], v[114:115], v[19:20]
	s_delay_alu instid0(VALU_DEP_1) | instskip(SKIP_1) | instid1(VALU_DEP_1)
	v_fma_f64 v[78:79], v[112:113], v[17:18], v[4:5]
	v_mul_f64 v[4:5], v[112:113], v[19:20]
	v_fma_f64 v[72:73], v[114:115], v[17:18], -v[4:5]
	v_mul_u32_u24_e32 v4, 0x2d83, v183
	s_delay_alu instid0(VALU_DEP_1) | instskip(NEXT) | instid1(VALU_DEP_1)
	v_lshrrev_b32_e32 v128, 20, v4
	v_mul_lo_u16 v4, 0x5a, v128
	s_delay_alu instid0(VALU_DEP_1) | instskip(NEXT) | instid1(VALU_DEP_1)
	v_sub_nc_u16 v4, v59, v4
	v_and_b32_e32 v129, 0xffff, v4
	s_delay_alu instid0(VALU_DEP_1) | instskip(NEXT) | instid1(VALU_DEP_1)
	v_mul_u32_u24_e32 v4, 5, v129
	v_lshlrev_b32_e32 v35, 4, v4
	s_clause 0x1
	global_load_b128 v[4:7], v35, s[4:5] offset:1392
	global_load_b128 v[112:115], v35, s[4:5] offset:1408
	s_waitcnt vmcnt(1)
	v_mul_f64 v[17:18], v[14:15], v[6:7]
	v_mul_f64 v[6:7], v[12:13], v[6:7]
	s_delay_alu instid0(VALU_DEP_2) | instskip(NEXT) | instid1(VALU_DEP_2)
	v_fma_f64 v[17:18], v[12:13], v[4:5], v[17:18]
	v_fma_f64 v[19:20], v[14:15], v[4:5], -v[6:7]
	s_waitcnt vmcnt(0)
	v_mul_f64 v[4:5], v[25:26], v[114:115]
	s_delay_alu instid0(VALU_DEP_1) | instskip(SKIP_1) | instid1(VALU_DEP_1)
	v_fma_f64 v[21:22], v[23:24], v[112:113], v[4:5]
	v_mul_f64 v[4:5], v[23:24], v[114:115]
	v_fma_f64 v[23:24], v[25:26], v[112:113], -v[4:5]
	s_clause 0x1
	global_load_b128 v[4:7], v35, s[4:5] offset:1424
	global_load_b128 v[12:15], v35, s[4:5] offset:1440
	s_waitcnt vmcnt(1)
	v_mul_f64 v[25:26], v[31:32], v[6:7]
	v_mul_f64 v[6:7], v[29:30], v[6:7]
	s_delay_alu instid0(VALU_DEP_2) | instskip(NEXT) | instid1(VALU_DEP_2)
	v_fma_f64 v[27:28], v[29:30], v[4:5], v[25:26]
	v_fma_f64 v[25:26], v[31:32], v[4:5], -v[6:7]
	s_waitcnt vmcnt(0) lgkmcnt(0)
	v_mul_f64 v[4:5], v[122:123], v[14:15]
	s_delay_alu instid0(VALU_DEP_1) | instskip(SKIP_2) | instid1(VALU_DEP_2)
	v_fma_f64 v[29:30], v[120:121], v[12:13], v[4:5]
	v_mul_f64 v[4:5], v[120:121], v[14:15]
	v_add_f64 v[120:121], v[142:143], -v[150:151]
	v_fma_f64 v[31:32], v[122:123], v[12:13], -v[4:5]
	global_load_b128 v[4:7], v35, s[4:5] offset:1456
	ds_load_b128 v[12:15], v168 offset:50112
	ds_load_b128 v[116:119], v168
	s_waitcnt vmcnt(0) lgkmcnt(1)
	v_mul_f64 v[35:36], v[14:15], v[6:7]
	v_mul_f64 v[6:7], v[12:13], v[6:7]
	s_delay_alu instid0(VALU_DEP_2) | instskip(NEXT) | instid1(VALU_DEP_2)
	v_fma_f64 v[39:40], v[12:13], v[4:5], v[35:36]
	v_fma_f64 v[35:36], v[14:15], v[4:5], -v[6:7]
	v_add_f64 v[4:5], v[136:137], v[144:145]
	v_add_f64 v[12:13], v[126:127], v[140:141]
	s_waitcnt lgkmcnt(0)
	v_add_f64 v[6:7], v[118:119], v[138:139]
	v_fma_f64 v[126:127], v[152:153], -0.5, v[126:127]
	s_delay_alu instid0(VALU_DEP_4) | instskip(SKIP_1) | instid1(VALU_DEP_4)
	v_fma_f64 v[112:113], v[4:5], -0.5, v[116:117]
	v_add_f64 v[4:5], v[138:139], v[146:147]
	v_add_f64 v[6:7], v[6:7], v[146:147]
	s_delay_alu instid0(VALU_DEP_2) | instskip(SKIP_3) | instid1(VALU_DEP_3)
	v_fma_f64 v[114:115], v[4:5], -0.5, v[118:119]
	v_add_f64 v[4:5], v[116:117], v[136:137]
	v_add_f64 v[116:117], v[12:13], v[148:149]
	;; [unrolled: 1-line block ×4, first 2 shown]
	s_delay_alu instid0(VALU_DEP_2) | instskip(NEXT) | instid1(VALU_DEP_2)
	v_add_f64 v[118:119], v[12:13], v[150:151]
	v_add_f64 v[12:13], v[4:5], v[116:117]
	v_add_f64 v[4:5], v[4:5], -v[116:117]
	s_delay_alu instid0(VALU_DEP_3) | instskip(SKIP_4) | instid1(VALU_DEP_3)
	v_add_f64 v[14:15], v[6:7], v[118:119]
	v_add_f64 v[6:7], v[6:7], -v[118:119]
	v_add_f64 v[118:119], v[142:143], v[150:151]
	v_add_f64 v[116:117], v[140:141], -v[148:149]
	v_fma_f64 v[140:141], v[120:121], s[6:7], v[126:127]
	v_fma_f64 v[122:123], v[118:119], -0.5, v[124:125]
	v_add_f64 v[118:119], v[136:137], -v[144:145]
	v_add_f64 v[124:125], v[138:139], -v[146:147]
	s_delay_alu instid0(VALU_DEP_3) | instskip(SKIP_1) | instid1(VALU_DEP_4)
	v_fma_f64 v[136:137], v[116:117], s[2:3], v[122:123]
	v_fma_f64 v[116:117], v[116:117], s[6:7], v[122:123]
	;; [unrolled: 1-line block ×3, first 2 shown]
	s_delay_alu instid0(VALU_DEP_4)
	v_fma_f64 v[122:123], v[124:125], s[2:3], v[112:113]
	v_fma_f64 v[118:119], v[118:119], s[6:7], v[114:115]
	v_mul_f64 v[138:139], v[136:137], s[6:7]
	v_mul_f64 v[136:137], v[136:137], 0.5
	v_mul_f64 v[114:115], v[116:117], s[6:7]
	v_mul_f64 v[116:117], v[116:117], -0.5
	s_delay_alu instid0(VALU_DEP_4) | instskip(NEXT) | instid1(VALU_DEP_4)
	v_fma_f64 v[142:143], v[140:141], 0.5, v[138:139]
	v_fma_f64 v[144:145], v[140:141], s[2:3], v[136:137]
	v_fma_f64 v[140:141], v[124:125], s[6:7], v[112:113]
	;; [unrolled: 1-line block ×3, first 2 shown]
	s_delay_alu instid0(VALU_DEP_3) | instskip(NEXT) | instid1(VALU_DEP_3)
	v_add_f64 v[138:139], v[146:147], v[144:145]
	v_add_f64 v[136:137], v[140:141], v[142:143]
	s_delay_alu instid0(VALU_DEP_3) | instskip(SKIP_3) | instid1(VALU_DEP_4)
	v_fma_f64 v[120:121], v[112:113], -0.5, v[114:115]
	v_fma_f64 v[124:125], v[112:113], s[2:3], v[116:117]
	v_add_f64 v[140:141], v[140:141], -v[142:143]
	v_add_f64 v[142:143], v[146:147], -v[144:145]
	v_add_f64 v[112:113], v[122:123], v[120:121]
	s_delay_alu instid0(VALU_DEP_4) | instskip(SKIP_3) | instid1(VALU_DEP_1)
	v_add_f64 v[114:115], v[118:119], v[124:125]
	v_add_f64 v[116:117], v[122:123], -v[120:121]
	v_add_f64 v[118:119], v[118:119], -v[124:125]
	v_cndmask_b32_e64 v120, 0, 0x21c0, s0
	v_add3_u32 v47, 0, v120, v47
	ds_load_b128 v[120:123], v177
	ds_load_b128 v[124:127], v176
	s_waitcnt lgkmcnt(0)
	s_barrier
	buffer_gl0_inv
	ds_store_b128 v47, v[12:15]
	ds_store_b128 v47, v[136:139] offset:1440
	ds_store_b128 v47, v[4:7] offset:4320
	;; [unrolled: 1-line block ×5, first 2 shown]
	v_add_f64 v[4:5], v[92:93], v[104:105]
	v_and_b32_e32 v47, 0xffff, v134
	s_delay_alu instid0(VALU_DEP_1) | instskip(NEXT) | instid1(VALU_DEP_3)
	v_mul_u32_u24_e32 v47, 0x21c0, v47
	v_fma_f64 v[112:113], v[4:5], -0.5, v[0:1]
	v_add_f64 v[4:5], v[94:95], v[106:107]
	v_add_f64 v[0:1], v[0:1], v[92:93]
	v_add_f64 v[92:93], v[92:93], -v[104:105]
	s_delay_alu instid0(VALU_DEP_3) | instskip(NEXT) | instid1(VALU_DEP_3)
	v_fma_f64 v[114:115], v[4:5], -0.5, v[2:3]
	v_add_f64 v[4:5], v[0:1], v[104:105]
	v_add_f64 v[0:1], v[88:89], v[102:103]
	;; [unrolled: 1-line block ×3, first 2 shown]
	v_add_f64 v[94:95], v[94:95], -v[106:107]
	s_delay_alu instid0(VALU_DEP_3) | instskip(SKIP_1) | instid1(VALU_DEP_4)
	v_add_f64 v[12:13], v[0:1], v[110:111]
	v_add_f64 v[0:1], v[90:91], v[98:99]
	;; [unrolled: 1-line block ×3, first 2 shown]
	s_delay_alu instid0(VALU_DEP_2) | instskip(NEXT) | instid1(VALU_DEP_4)
	v_add_f64 v[14:15], v[0:1], v[108:109]
	v_add_f64 v[0:1], v[4:5], v[12:13]
	v_add_f64 v[4:5], v[4:5], -v[12:13]
	v_add_f64 v[12:13], v[102:103], v[110:111]
	v_add_f64 v[102:103], v[102:103], -v[110:111]
	;; [unrolled: 2-line block ×4, first 2 shown]
	v_fma_f64 v[104:105], v[12:13], -0.5, v[88:89]
	v_fma_f64 v[108:109], v[92:93], s[2:3], v[114:115]
	s_delay_alu instid0(VALU_DEP_4) | instskip(NEXT) | instid1(VALU_DEP_3)
	v_fma_f64 v[110:111], v[14:15], -0.5, v[90:91]
	v_fma_f64 v[88:89], v[98:99], s[6:7], v[104:105]
	s_delay_alu instid0(VALU_DEP_2) | instskip(SKIP_1) | instid1(VALU_DEP_2)
	v_fma_f64 v[12:13], v[102:103], s[2:3], v[110:111]
	v_fma_f64 v[102:103], v[102:103], s[6:7], v[110:111]
	v_mul_f64 v[14:15], v[12:13], s[6:7]
	v_mul_f64 v[12:13], v[12:13], 0.5
	s_delay_alu instid0(VALU_DEP_2) | instskip(NEXT) | instid1(VALU_DEP_2)
	v_fma_f64 v[90:91], v[88:89], 0.5, v[14:15]
	v_fma_f64 v[106:107], v[88:89], s[2:3], v[12:13]
	v_fma_f64 v[88:89], v[94:95], s[6:7], v[112:113]
	s_delay_alu instid0(VALU_DEP_2) | instskip(NEXT) | instid1(VALU_DEP_2)
	v_add_f64 v[14:15], v[108:109], v[106:107]
	v_add_f64 v[12:13], v[88:89], v[90:91]
	v_add_f64 v[88:89], v[88:89], -v[90:91]
	v_add_f64 v[90:91], v[108:109], -v[106:107]
	v_fma_f64 v[106:107], v[94:95], s[2:3], v[112:113]
	v_fma_f64 v[108:109], v[92:93], s[6:7], v[114:115]
	;; [unrolled: 1-line block ×3, first 2 shown]
	v_mul_f64 v[94:95], v[102:103], s[6:7]
	v_mul_f64 v[98:99], v[102:103], -0.5
	s_delay_alu instid0(VALU_DEP_2) | instskip(NEXT) | instid1(VALU_DEP_2)
	v_fma_f64 v[102:103], v[92:93], -0.5, v[94:95]
	v_fma_f64 v[98:99], v[92:93], s[2:3], v[98:99]
	s_delay_alu instid0(VALU_DEP_2) | instskip(NEXT) | instid1(VALU_DEP_2)
	v_add_f64 v[92:93], v[106:107], v[102:103]
	v_add_f64 v[94:95], v[108:109], v[98:99]
	v_add_f64 v[102:103], v[106:107], -v[102:103]
	v_add_f64 v[104:105], v[108:109], -v[98:99]
	v_lshlrev_b32_e32 v98, 4, v135
	s_delay_alu instid0(VALU_DEP_1)
	v_add3_u32 v47, 0, v47, v98
	ds_store_b128 v47, v[0:3]
	ds_store_b128 v47, v[12:15] offset:1440
	ds_store_b128 v47, v[92:95] offset:2880
	;; [unrolled: 1-line block ×5, first 2 shown]
	v_add_f64 v[0:1], v[74:75], v[84:85]
	v_add_f64 v[2:3], v[122:123], v[76:77]
	v_mul_u32_u24_e32 v47, 0x21c0, v132
	s_delay_alu instid0(VALU_DEP_3) | instskip(SKIP_1) | instid1(VALU_DEP_4)
	v_fma_f64 v[88:89], v[0:1], -0.5, v[120:121]
	v_add_f64 v[0:1], v[76:77], v[86:87]
	v_add_f64 v[6:7], v[2:3], v[86:87]
	v_add_f64 v[86:87], v[76:77], -v[86:87]
	s_delay_alu instid0(VALU_DEP_3) | instskip(SKIP_1) | instid1(VALU_DEP_1)
	v_fma_f64 v[90:91], v[0:1], -0.5, v[122:123]
	v_add_f64 v[0:1], v[120:121], v[74:75]
	v_add_f64 v[4:5], v[0:1], v[84:85]
	;; [unrolled: 1-line block ×3, first 2 shown]
	v_add_f64 v[84:85], v[74:75], -v[84:85]
	s_delay_alu instid0(VALU_DEP_2) | instskip(SKIP_1) | instid1(VALU_DEP_3)
	v_add_f64 v[12:13], v[0:1], v[100:101]
	v_add_f64 v[0:1], v[70:71], v[80:81]
	v_fma_f64 v[94:95], v[84:85], s[2:3], v[90:91]
	s_delay_alu instid0(VALU_DEP_2) | instskip(NEXT) | instid1(VALU_DEP_4)
	v_add_f64 v[14:15], v[0:1], v[96:97]
	v_add_f64 v[0:1], v[4:5], v[12:13]
	v_add_f64 v[4:5], v[4:5], -v[12:13]
	v_add_f64 v[12:13], v[82:83], v[100:101]
	v_add_f64 v[82:83], v[82:83], -v[100:101]
	;; [unrolled: 2-line block ×4, first 2 shown]
	v_fma_f64 v[64:65], v[12:13], -0.5, v[64:65]
	s_delay_alu instid0(VALU_DEP_3) | instskip(NEXT) | instid1(VALU_DEP_2)
	v_fma_f64 v[70:71], v[14:15], -0.5, v[70:71]
	v_fma_f64 v[74:75], v[80:81], s[6:7], v[64:65]
	v_fma_f64 v[64:65], v[80:81], s[2:3], v[64:65]
	s_delay_alu instid0(VALU_DEP_3) | instskip(SKIP_1) | instid1(VALU_DEP_2)
	v_fma_f64 v[12:13], v[82:83], s[2:3], v[70:71]
	v_fma_f64 v[70:71], v[82:83], s[6:7], v[70:71]
	v_mul_f64 v[14:15], v[12:13], s[6:7]
	v_mul_f64 v[12:13], v[12:13], 0.5
	s_delay_alu instid0(VALU_DEP_3) | instskip(SKIP_1) | instid1(VALU_DEP_4)
	v_mul_f64 v[80:81], v[70:71], s[6:7]
	v_mul_f64 v[70:71], v[70:71], -0.5
	v_fma_f64 v[76:77], v[74:75], 0.5, v[14:15]
	s_delay_alu instid0(VALU_DEP_4)
	v_fma_f64 v[92:93], v[74:75], s[2:3], v[12:13]
	v_fma_f64 v[74:75], v[86:87], s[6:7], v[88:89]
	;; [unrolled: 1-line block ×4, first 2 shown]
	v_fma_f64 v[84:85], v[64:65], -0.5, v[80:81]
	v_fma_f64 v[64:65], v[64:65], s[2:3], v[70:71]
	v_add_f64 v[14:15], v[94:95], v[92:93]
	v_add_f64 v[12:13], v[74:75], v[76:77]
	v_add_f64 v[74:75], v[74:75], -v[76:77]
	v_add_f64 v[76:77], v[94:95], -v[92:93]
	v_add_f64 v[80:81], v[86:87], v[84:85]
	v_add_f64 v[82:83], v[88:89], v[64:65]
	v_add_f64 v[84:85], v[86:87], -v[84:85]
	v_add_f64 v[86:87], v[88:89], -v[64:65]
	v_lshlrev_b32_e32 v64, 4, v133
	s_delay_alu instid0(VALU_DEP_1)
	v_add3_u32 v47, 0, v47, v64
	ds_store_b128 v47, v[0:3]
	ds_store_b128 v47, v[12:15] offset:1440
	ds_store_b128 v47, v[80:83] offset:2880
	;; [unrolled: 1-line block ×5, first 2 shown]
	v_add_f64 v[0:1], v[41:42], v[66:67]
	v_add_f64 v[2:3], v[126:127], v[43:44]
	s_delay_alu instid0(VALU_DEP_2) | instskip(SKIP_1) | instid1(VALU_DEP_3)
	v_fma_f64 v[64:65], v[0:1], -0.5, v[124:125]
	v_add_f64 v[0:1], v[43:44], v[68:69]
	v_add_f64 v[6:7], v[2:3], v[68:69]
	v_add_f64 v[68:69], v[43:44], -v[68:69]
	s_delay_alu instid0(VALU_DEP_3) | instskip(SKIP_1) | instid1(VALU_DEP_1)
	v_fma_f64 v[70:71], v[0:1], -0.5, v[126:127]
	v_add_f64 v[0:1], v[124:125], v[41:42]
	v_add_f64 v[4:5], v[0:1], v[66:67]
	;; [unrolled: 1-line block ×3, first 2 shown]
	v_add_f64 v[66:67], v[41:42], -v[66:67]
	s_delay_alu instid0(VALU_DEP_2) | instskip(SKIP_1) | instid1(VALU_DEP_3)
	v_add_f64 v[12:13], v[0:1], v[78:79]
	v_add_f64 v[0:1], v[37:38], v[45:46]
	v_fma_f64 v[74:75], v[66:67], s[2:3], v[70:71]
	s_delay_alu instid0(VALU_DEP_2) | instskip(NEXT) | instid1(VALU_DEP_4)
	v_add_f64 v[14:15], v[0:1], v[72:73]
	v_add_f64 v[0:1], v[4:5], v[12:13]
	v_add_f64 v[4:5], v[4:5], -v[12:13]
	v_add_f64 v[12:13], v[62:63], v[78:79]
	v_add_f64 v[62:63], v[62:63], -v[78:79]
	;; [unrolled: 2-line block ×4, first 2 shown]
	v_fma_f64 v[33:34], v[12:13], -0.5, v[33:34]
	s_delay_alu instid0(VALU_DEP_3) | instskip(NEXT) | instid1(VALU_DEP_2)
	v_fma_f64 v[37:38], v[14:15], -0.5, v[37:38]
	v_fma_f64 v[41:42], v[45:46], s[6:7], v[33:34]
	v_fma_f64 v[33:34], v[45:46], s[2:3], v[33:34]
	;; [unrolled: 1-line block ×3, first 2 shown]
	s_delay_alu instid0(VALU_DEP_4) | instskip(SKIP_1) | instid1(VALU_DEP_2)
	v_fma_f64 v[12:13], v[62:63], s[2:3], v[37:38]
	v_fma_f64 v[37:38], v[62:63], s[6:7], v[37:38]
	v_mul_f64 v[14:15], v[12:13], s[6:7]
	v_mul_f64 v[12:13], v[12:13], 0.5
	s_delay_alu instid0(VALU_DEP_3) | instskip(SKIP_1) | instid1(VALU_DEP_4)
	v_mul_f64 v[62:63], v[37:38], s[6:7]
	v_mul_f64 v[37:38], v[37:38], -0.5
	v_fma_f64 v[43:44], v[41:42], 0.5, v[14:15]
	s_delay_alu instid0(VALU_DEP_4)
	v_fma_f64 v[72:73], v[41:42], s[2:3], v[12:13]
	v_fma_f64 v[41:42], v[68:69], s[6:7], v[64:65]
	v_fma_f64 v[68:69], v[68:69], s[2:3], v[64:65]
	v_fma_f64 v[66:67], v[33:34], -0.5, v[62:63]
	v_fma_f64 v[33:34], v[33:34], s[2:3], v[37:38]
	v_add_f64 v[14:15], v[74:75], v[72:73]
	v_add_f64 v[12:13], v[41:42], v[43:44]
	v_add_f64 v[41:42], v[41:42], -v[43:44]
	v_add_f64 v[62:63], v[68:69], v[66:67]
	v_add_f64 v[64:65], v[45:46], v[33:34]
	v_add_f64 v[43:44], v[74:75], -v[72:73]
	v_add_f64 v[66:67], v[68:69], -v[66:67]
	v_add_f64 v[68:69], v[45:46], -v[33:34]
	v_mul_u32_u24_e32 v33, 0x21c0, v130
	v_lshlrev_b32_e32 v34, 4, v131
	s_delay_alu instid0(VALU_DEP_1)
	v_add3_u32 v33, 0, v33, v34
	ds_store_b128 v33, v[0:3]
	ds_store_b128 v33, v[12:15] offset:1440
	ds_store_b128 v33, v[62:65] offset:2880
	;; [unrolled: 1-line block ×5, first 2 shown]
	v_add_f64 v[0:1], v[21:22], v[29:30]
	v_add_f64 v[2:3], v[10:11], v[23:24]
	s_delay_alu instid0(VALU_DEP_2) | instskip(SKIP_1) | instid1(VALU_DEP_3)
	v_fma_f64 v[33:34], v[0:1], -0.5, v[8:9]
	v_add_f64 v[0:1], v[23:24], v[31:32]
	v_add_f64 v[6:7], v[2:3], v[31:32]
	v_add_f64 v[23:24], v[23:24], -v[31:32]
	s_delay_alu instid0(VALU_DEP_3) | instskip(SKIP_2) | instid1(VALU_DEP_2)
	v_fma_f64 v[37:38], v[0:1], -0.5, v[10:11]
	v_add_f64 v[0:1], v[8:9], v[21:22]
	v_add_f64 v[21:22], v[21:22], -v[29:30]
	v_add_f64 v[4:5], v[0:1], v[29:30]
	v_add_f64 v[0:1], v[17:18], v[27:28]
	s_delay_alu instid0(VALU_DEP_3) | instskip(NEXT) | instid1(VALU_DEP_2)
	v_fma_f64 v[31:32], v[21:22], s[2:3], v[37:38]
	v_add_f64 v[8:9], v[0:1], v[39:40]
	v_add_f64 v[0:1], v[19:20], v[25:26]
	s_delay_alu instid0(VALU_DEP_1) | instskip(NEXT) | instid1(VALU_DEP_3)
	v_add_f64 v[10:11], v[0:1], v[35:36]
	v_add_f64 v[0:1], v[4:5], v[8:9]
	v_add_f64 v[4:5], v[4:5], -v[8:9]
	v_add_f64 v[8:9], v[27:28], v[39:40]
	v_add_f64 v[27:28], v[27:28], -v[39:40]
	;; [unrolled: 2-line block ×4, first 2 shown]
	v_fma_f64 v[17:18], v[8:9], -0.5, v[17:18]
	s_delay_alu instid0(VALU_DEP_3) | instskip(NEXT) | instid1(VALU_DEP_2)
	v_fma_f64 v[19:20], v[10:11], -0.5, v[19:20]
	v_fma_f64 v[12:13], v[25:26], s[6:7], v[17:18]
	v_fma_f64 v[17:18], v[25:26], s[2:3], v[17:18]
	;; [unrolled: 1-line block ×3, first 2 shown]
	s_delay_alu instid0(VALU_DEP_4) | instskip(SKIP_1) | instid1(VALU_DEP_2)
	v_fma_f64 v[8:9], v[27:28], s[2:3], v[19:20]
	v_fma_f64 v[19:20], v[27:28], s[6:7], v[19:20]
	v_mul_f64 v[10:11], v[8:9], s[6:7]
	v_mul_f64 v[8:9], v[8:9], 0.5
	s_delay_alu instid0(VALU_DEP_3) | instskip(SKIP_1) | instid1(VALU_DEP_4)
	v_mul_f64 v[21:22], v[19:20], s[6:7]
	v_mul_f64 v[19:20], v[19:20], -0.5
	v_fma_f64 v[14:15], v[12:13], 0.5, v[10:11]
	s_delay_alu instid0(VALU_DEP_4)
	v_fma_f64 v[29:30], v[12:13], s[2:3], v[8:9]
	v_fma_f64 v[12:13], v[23:24], s[6:7], v[33:34]
	;; [unrolled: 1-line block ×3, first 2 shown]
	v_fma_f64 v[21:22], v[17:18], -0.5, v[21:22]
	v_fma_f64 v[27:28], v[17:18], s[2:3], v[19:20]
	v_add_f64 v[10:11], v[31:32], v[29:30]
	v_add_f64 v[8:9], v[12:13], v[14:15]
	v_add_f64 v[12:13], v[12:13], -v[14:15]
	v_add_f64 v[17:18], v[23:24], v[21:22]
	v_add_f64 v[19:20], v[25:26], v[27:28]
	v_add_f64 v[14:15], v[31:32], -v[29:30]
	v_add_f64 v[21:22], v[23:24], -v[21:22]
	;; [unrolled: 1-line block ×3, first 2 shown]
	v_mul_u32_u24_e32 v25, 0x21c0, v128
	v_lshlrev_b32_e32 v26, 4, v129
	s_delay_alu instid0(VALU_DEP_1)
	v_add3_u32 v25, 0, v25, v26
	ds_store_b128 v25, v[0:3]
	ds_store_b128 v25, v[8:11] offset:1440
	ds_store_b128 v25, v[17:20] offset:2880
	;; [unrolled: 1-line block ×5, first 2 shown]
	v_mul_u32_u24_e32 v0, 5, v48
	s_waitcnt lgkmcnt(0)
	s_barrier
	buffer_gl0_inv
	ds_load_b128 v[4:7], v182
	v_lshlrev_b32_e32 v0, 4, v0
	s_delay_alu instid0(VALU_DEP_1) | instskip(NEXT) | instid1(VALU_DEP_1)
	v_add_co_u32 v0, s0, s4, v0
	v_add_co_ci_u32_e64 v1, null, s5, 0, s0
	s_delay_alu instid0(VALU_DEP_2) | instskip(NEXT) | instid1(VALU_DEP_1)
	v_add_co_u32 v12, s0, 0x2000, v0
	v_add_co_ci_u32_e64 v13, s0, 0, v1, s0
	v_add_co_u32 v14, s0, 0x2190, v0
	s_delay_alu instid0(VALU_DEP_1)
	v_add_co_ci_u32_e64 v15, s0, 0, v1, s0
	s_clause 0x1
	global_load_b128 v[8:11], v[12:13], off offset:400
	global_load_b128 v[0:3], v[14:15], off offset:48
	ds_load_b128 v[17:20], v175
	s_waitcnt vmcnt(1) lgkmcnt(1)
	v_mul_f64 v[21:22], v[6:7], v[10:11]
	s_delay_alu instid0(VALU_DEP_1) | instskip(SKIP_1) | instid1(VALU_DEP_1)
	v_fma_f64 v[41:42], v[4:5], v[8:9], v[21:22]
	v_mul_f64 v[4:5], v[4:5], v[10:11]
	v_fma_f64 v[43:44], v[6:7], v[8:9], -v[4:5]
	s_clause 0x1
	global_load_b128 v[4:7], v[14:15], off offset:16
	global_load_b128 v[8:11], v[14:15], off offset:32
	ds_load_b128 v[21:24], v168 offset:17280
	ds_load_b128 v[25:28], v168 offset:19008
	s_waitcnt vmcnt(1) lgkmcnt(1)
	v_mul_f64 v[14:15], v[23:24], v[6:7]
	v_mul_f64 v[6:7], v[21:22], v[6:7]
	s_delay_alu instid0(VALU_DEP_2) | instskip(NEXT) | instid1(VALU_DEP_2)
	v_fma_f64 v[45:46], v[21:22], v[4:5], v[14:15]
	v_fma_f64 v[62:63], v[23:24], v[4:5], -v[6:7]
	ds_load_b128 v[4:7], v168 offset:25920
	ds_load_b128 v[21:24], v168 offset:24192
	s_waitcnt vmcnt(0) lgkmcnt(1)
	v_mul_f64 v[14:15], v[6:7], v[10:11]
	s_delay_alu instid0(VALU_DEP_1) | instskip(SKIP_1) | instid1(VALU_DEP_1)
	v_fma_f64 v[64:65], v[4:5], v[8:9], v[14:15]
	v_mul_f64 v[4:5], v[4:5], v[10:11]
	v_fma_f64 v[66:67], v[6:7], v[8:9], -v[4:5]
	ds_load_b128 v[4:7], v168 offset:34560
	ds_load_b128 v[8:11], v168 offset:32832
	;; [unrolled: 1-line block ×3, first 2 shown]
	s_waitcnt lgkmcnt(2)
	v_mul_f64 v[14:15], v[6:7], v[2:3]
	v_mul_f64 v[2:3], v[4:5], v[2:3]
	s_delay_alu instid0(VALU_DEP_2) | instskip(SKIP_1) | instid1(VALU_DEP_3)
	v_fma_f64 v[68:69], v[4:5], v[0:1], v[14:15]
	v_mul_i32_i24_e32 v15, 5, v50
	v_fma_f64 v[70:71], v[6:7], v[0:1], -v[2:3]
	ds_load_b128 v[4:7], v168 offset:43200
	v_lshlrev_b64 v[0:1], 4, v[15:16]
	s_delay_alu instid0(VALU_DEP_1) | instskip(NEXT) | instid1(VALU_DEP_1)
	v_add_co_u32 v35, s0, s4, v0
	v_add_co_ci_u32_e64 v36, s0, s5, v1, s0
	global_load_b128 v[0:3], v[12:13], off offset:464
	v_add_co_u32 v72, s0, 0x2190, v35
	s_delay_alu instid0(VALU_DEP_1) | instskip(SKIP_4) | instid1(VALU_DEP_2)
	v_add_co_ci_u32_e64 v73, s0, 0, v36, s0
	global_load_b128 v[12:15], v[72:73], off offset:16
	s_waitcnt vmcnt(1) lgkmcnt(0)
	v_mul_f64 v[33:34], v[6:7], v[2:3]
	v_mul_f64 v[2:3], v[4:5], v[2:3]
	v_fma_f64 v[74:75], v[4:5], v[0:1], v[33:34]
	v_add_co_u32 v4, s0, 0x2000, v35
	s_delay_alu instid0(VALU_DEP_1) | instskip(NEXT) | instid1(VALU_DEP_4)
	v_add_co_ci_u32_e64 v5, s0, 0, v36, s0
	v_fma_f64 v[76:77], v[6:7], v[0:1], -v[2:3]
	s_clause 0x1
	global_load_b128 v[0:3], v[4:5], off offset:400
	global_load_b128 v[4:7], v[4:5], off offset:464
	ds_load_b128 v[33:36], v168 offset:10368
	ds_load_b128 v[37:40], v168 offset:12096
	s_waitcnt vmcnt(1) lgkmcnt(1)
	v_mul_f64 v[78:79], v[35:36], v[2:3]
	v_mul_f64 v[2:3], v[33:34], v[2:3]
	s_delay_alu instid0(VALU_DEP_2) | instskip(NEXT) | instid1(VALU_DEP_2)
	v_fma_f64 v[78:79], v[33:34], v[0:1], v[78:79]
	v_fma_f64 v[80:81], v[35:36], v[0:1], -v[2:3]
	v_mul_f64 v[0:1], v[27:28], v[14:15]
	s_delay_alu instid0(VALU_DEP_1) | instskip(SKIP_1) | instid1(VALU_DEP_1)
	v_fma_f64 v[82:83], v[25:26], v[12:13], v[0:1]
	v_mul_f64 v[0:1], v[25:26], v[14:15]
	v_fma_f64 v[84:85], v[27:28], v[12:13], -v[0:1]
	s_clause 0x1
	global_load_b128 v[0:3], v[72:73], off offset:32
	global_load_b128 v[12:15], v[72:73], off offset:48
	ds_load_b128 v[25:28], v168 offset:27648
	ds_load_b128 v[33:36], v168 offset:29376
	s_waitcnt vmcnt(1) lgkmcnt(1)
	v_mul_f64 v[72:73], v[27:28], v[2:3]
	v_mul_f64 v[2:3], v[25:26], v[2:3]
	s_delay_alu instid0(VALU_DEP_2) | instskip(NEXT) | instid1(VALU_DEP_2)
	v_fma_f64 v[86:87], v[25:26], v[0:1], v[72:73]
	v_fma_f64 v[88:89], v[27:28], v[0:1], -v[2:3]
	ds_load_b128 v[0:3], v168 offset:36288
	ds_load_b128 v[25:28], v168 offset:38016
	s_waitcnt vmcnt(0) lgkmcnt(1)
	v_mul_f64 v[72:73], v[2:3], v[14:15]
	s_delay_alu instid0(VALU_DEP_1) | instskip(SKIP_2) | instid1(VALU_DEP_2)
	v_fma_f64 v[90:91], v[0:1], v[12:13], v[72:73]
	v_mul_f64 v[0:1], v[0:1], v[14:15]
	v_mul_i32_i24_e32 v15, 5, v61
	v_fma_f64 v[92:93], v[2:3], v[12:13], -v[0:1]
	v_mul_f64 v[0:1], v[31:32], v[6:7]
	s_delay_alu instid0(VALU_DEP_1) | instskip(SKIP_1) | instid1(VALU_DEP_1)
	v_fma_f64 v[94:95], v[29:30], v[4:5], v[0:1]
	v_mul_f64 v[0:1], v[29:30], v[6:7]
	v_fma_f64 v[96:97], v[31:32], v[4:5], -v[0:1]
	v_lshlrev_b64 v[0:1], 4, v[15:16]
	s_delay_alu instid0(VALU_DEP_1) | instskip(NEXT) | instid1(VALU_DEP_1)
	v_add_co_u32 v0, s0, s4, v0
	v_add_co_ci_u32_e64 v1, s0, s5, v1, s0
	s_delay_alu instid0(VALU_DEP_2) | instskip(NEXT) | instid1(VALU_DEP_1)
	v_add_co_u32 v72, s0, 0x2000, v0
	v_add_co_ci_u32_e64 v73, s0, 0, v1, s0
	v_add_co_u32 v12, s0, 0x2190, v0
	s_delay_alu instid0(VALU_DEP_1)
	v_add_co_ci_u32_e64 v13, s0, 0, v1, s0
	s_clause 0x1
	global_load_b128 v[0:3], v[72:73], off offset:400
	global_load_b128 v[4:7], v[12:13], off offset:48
	s_waitcnt vmcnt(1)
	v_mul_f64 v[14:15], v[39:40], v[2:3]
	v_mul_f64 v[2:3], v[37:38], v[2:3]
	s_delay_alu instid0(VALU_DEP_2) | instskip(NEXT) | instid1(VALU_DEP_2)
	v_fma_f64 v[98:99], v[37:38], v[0:1], v[14:15]
	v_fma_f64 v[100:101], v[39:40], v[0:1], -v[2:3]
	s_clause 0x1
	global_load_b128 v[0:3], v[12:13], off offset:16
	global_load_b128 v[12:15], v[12:13], off offset:32
	ds_load_b128 v[29:32], v168 offset:20736
	ds_load_b128 v[37:40], v168 offset:22464
	s_waitcnt vmcnt(1) lgkmcnt(1)
	v_mul_f64 v[102:103], v[31:32], v[2:3]
	v_mul_f64 v[2:3], v[29:30], v[2:3]
	s_delay_alu instid0(VALU_DEP_2) | instskip(NEXT) | instid1(VALU_DEP_2)
	v_fma_f64 v[102:103], v[29:30], v[0:1], v[102:103]
	v_fma_f64 v[104:105], v[31:32], v[0:1], -v[2:3]
	s_waitcnt vmcnt(0)
	v_mul_f64 v[0:1], v[35:36], v[14:15]
	s_delay_alu instid0(VALU_DEP_1) | instskip(SKIP_2) | instid1(VALU_DEP_2)
	v_fma_f64 v[106:107], v[33:34], v[12:13], v[0:1]
	v_mul_f64 v[0:1], v[33:34], v[14:15]
	v_mul_i32_i24_e32 v15, 5, v60
	v_fma_f64 v[108:109], v[35:36], v[12:13], -v[0:1]
	v_mul_f64 v[0:1], v[27:28], v[6:7]
	s_delay_alu instid0(VALU_DEP_1) | instskip(SKIP_1) | instid1(VALU_DEP_1)
	v_fma_f64 v[110:111], v[25:26], v[4:5], v[0:1]
	v_mul_f64 v[0:1], v[25:26], v[6:7]
	v_fma_f64 v[112:113], v[27:28], v[4:5], -v[0:1]
	v_lshlrev_b64 v[0:1], 4, v[15:16]
	ds_load_b128 v[4:7], v168 offset:46656
	ds_load_b128 v[25:28], v168 offset:48384
	v_add_co_u32 v31, s0, s4, v0
	s_delay_alu instid0(VALU_DEP_1) | instskip(SKIP_2) | instid1(VALU_DEP_1)
	v_add_co_ci_u32_e64 v32, s0, s5, v1, s0
	global_load_b128 v[0:3], v[72:73], off offset:464
	v_add_co_u32 v114, s0, 0x2190, v31
	v_add_co_ci_u32_e64 v115, s0, 0, v32, s0
	global_load_b128 v[12:15], v[114:115], off offset:16
	s_waitcnt vmcnt(1) lgkmcnt(1)
	v_mul_f64 v[29:30], v[6:7], v[2:3]
	v_mul_f64 v[2:3], v[4:5], v[2:3]
	s_delay_alu instid0(VALU_DEP_2) | instskip(SKIP_1) | instid1(VALU_DEP_1)
	v_fma_f64 v[116:117], v[4:5], v[0:1], v[29:30]
	v_add_co_u32 v4, s0, 0x2000, v31
	v_add_co_ci_u32_e64 v5, s0, 0, v32, s0
	s_delay_alu instid0(VALU_DEP_4)
	v_fma_f64 v[118:119], v[6:7], v[0:1], -v[2:3]
	s_clause 0x1
	global_load_b128 v[0:3], v[4:5], off offset:400
	global_load_b128 v[4:7], v[4:5], off offset:464
	ds_load_b128 v[29:32], v168 offset:13824
	ds_load_b128 v[33:36], v168 offset:15552
	s_waitcnt vmcnt(1) lgkmcnt(1)
	v_mul_f64 v[72:73], v[31:32], v[2:3]
	v_mul_f64 v[2:3], v[29:30], v[2:3]
	s_delay_alu instid0(VALU_DEP_2) | instskip(NEXT) | instid1(VALU_DEP_2)
	v_fma_f64 v[120:121], v[29:30], v[0:1], v[72:73]
	v_fma_f64 v[122:123], v[31:32], v[0:1], -v[2:3]
	v_mul_f64 v[0:1], v[39:40], v[14:15]
	s_delay_alu instid0(VALU_DEP_1) | instskip(SKIP_1) | instid1(VALU_DEP_1)
	v_fma_f64 v[124:125], v[37:38], v[12:13], v[0:1]
	v_mul_f64 v[0:1], v[37:38], v[14:15]
	v_fma_f64 v[126:127], v[39:40], v[12:13], -v[0:1]
	s_clause 0x1
	global_load_b128 v[0:3], v[114:115], off offset:32
	global_load_b128 v[12:15], v[114:115], off offset:48
	ds_load_b128 v[29:32], v168 offset:31104
	ds_load_b128 v[37:40], v174
	s_waitcnt vmcnt(1) lgkmcnt(1)
	v_mul_f64 v[72:73], v[31:32], v[2:3]
	v_mul_f64 v[2:3], v[29:30], v[2:3]
	s_delay_alu instid0(VALU_DEP_2) | instskip(NEXT) | instid1(VALU_DEP_2)
	v_fma_f64 v[114:115], v[29:30], v[0:1], v[72:73]
	v_fma_f64 v[128:129], v[31:32], v[0:1], -v[2:3]
	ds_load_b128 v[0:3], v168 offset:39744
	ds_load_b128 v[29:32], v168 offset:41472
	s_waitcnt vmcnt(0) lgkmcnt(1)
	v_mul_f64 v[72:73], v[2:3], v[14:15]
	s_delay_alu instid0(VALU_DEP_1) | instskip(SKIP_2) | instid1(VALU_DEP_2)
	v_fma_f64 v[130:131], v[0:1], v[12:13], v[72:73]
	v_mul_f64 v[0:1], v[0:1], v[14:15]
	v_mul_i32_i24_e32 v15, 5, v59
	v_fma_f64 v[132:133], v[2:3], v[12:13], -v[0:1]
	v_mul_f64 v[0:1], v[27:28], v[6:7]
	s_delay_alu instid0(VALU_DEP_1) | instskip(SKIP_1) | instid1(VALU_DEP_1)
	v_fma_f64 v[134:135], v[25:26], v[4:5], v[0:1]
	v_mul_f64 v[0:1], v[25:26], v[6:7]
	v_fma_f64 v[136:137], v[27:28], v[4:5], -v[0:1]
	v_lshlrev_b64 v[0:1], 4, v[15:16]
	s_delay_alu instid0(VALU_DEP_1) | instskip(NEXT) | instid1(VALU_DEP_1)
	v_add_co_u32 v0, s0, s4, v0
	v_add_co_ci_u32_e64 v1, s0, s5, v1, s0
	s_delay_alu instid0(VALU_DEP_2) | instskip(NEXT) | instid1(VALU_DEP_1)
	v_add_co_u32 v25, s0, 0x2000, v0
	v_add_co_ci_u32_e64 v26, s0, 0, v1, s0
	v_add_co_u32 v12, s0, 0x2190, v0
	s_delay_alu instid0(VALU_DEP_1)
	v_add_co_ci_u32_e64 v13, s0, 0, v1, s0
	s_clause 0x1
	global_load_b128 v[0:3], v[25:26], off offset:400
	global_load_b128 v[4:7], v[12:13], off offset:48
	s_waitcnt vmcnt(1)
	v_mul_f64 v[14:15], v[35:36], v[2:3]
	v_mul_f64 v[2:3], v[33:34], v[2:3]
	s_delay_alu instid0(VALU_DEP_2) | instskip(NEXT) | instid1(VALU_DEP_2)
	v_fma_f64 v[138:139], v[33:34], v[0:1], v[14:15]
	v_fma_f64 v[140:141], v[35:36], v[0:1], -v[2:3]
	s_clause 0x1
	global_load_b128 v[0:3], v[12:13], off offset:16
	global_load_b128 v[12:15], v[12:13], off offset:32
	s_waitcnt vmcnt(1)
	v_mul_f64 v[27:28], v[23:24], v[2:3]
	v_mul_f64 v[2:3], v[21:22], v[2:3]
	s_delay_alu instid0(VALU_DEP_2) | instskip(NEXT) | instid1(VALU_DEP_2)
	v_fma_f64 v[142:143], v[21:22], v[0:1], v[27:28]
	v_fma_f64 v[144:145], v[23:24], v[0:1], -v[2:3]
	s_waitcnt vmcnt(0)
	v_mul_f64 v[0:1], v[10:11], v[14:15]
	s_delay_alu instid0(VALU_DEP_1) | instskip(SKIP_1) | instid1(VALU_DEP_1)
	v_fma_f64 v[146:147], v[8:9], v[12:13], v[0:1]
	v_mul_f64 v[0:1], v[8:9], v[14:15]
	v_fma_f64 v[148:149], v[10:11], v[12:13], -v[0:1]
	s_waitcnt lgkmcnt(0)
	v_mul_f64 v[0:1], v[31:32], v[6:7]
	s_delay_alu instid0(VALU_DEP_1) | instskip(SKIP_2) | instid1(VALU_DEP_2)
	v_fma_f64 v[150:151], v[29:30], v[4:5], v[0:1]
	v_mul_f64 v[0:1], v[29:30], v[6:7]
	v_add_f64 v[29:30], v[102:103], v[110:111]
	v_fma_f64 v[152:153], v[31:32], v[4:5], -v[0:1]
	global_load_b128 v[0:3], v[25:26], off offset:464
	ds_load_b128 v[4:7], v168 offset:50112
	ds_load_b128 v[8:11], v168
	s_waitcnt vmcnt(0) lgkmcnt(1)
	v_mul_f64 v[12:13], v[6:7], v[2:3]
	v_mul_f64 v[2:3], v[4:5], v[2:3]
	s_delay_alu instid0(VALU_DEP_2) | instskip(NEXT) | instid1(VALU_DEP_2)
	v_fma_f64 v[154:155], v[4:5], v[0:1], v[12:13]
	v_fma_f64 v[156:157], v[6:7], v[0:1], -v[2:3]
	v_add_f64 v[0:1], v[45:46], v[68:69]
	s_waitcnt lgkmcnt(0)
	v_add_f64 v[2:3], v[10:11], v[62:63]
	s_delay_alu instid0(VALU_DEP_2) | instskip(SKIP_1) | instid1(VALU_DEP_3)
	v_fma_f64 v[72:73], v[0:1], -0.5, v[8:9]
	v_add_f64 v[0:1], v[62:63], v[70:71]
	v_add_f64 v[6:7], v[2:3], v[70:71]
	s_delay_alu instid0(VALU_DEP_2) | instskip(SKIP_2) | instid1(VALU_DEP_2)
	v_fma_f64 v[158:159], v[0:1], -0.5, v[10:11]
	v_add_f64 v[0:1], v[8:9], v[45:46]
	v_add_f64 v[45:46], v[45:46], -v[68:69]
	v_add_f64 v[4:5], v[0:1], v[68:69]
	v_add_f64 v[0:1], v[41:42], v[64:65]
	v_add_f64 v[68:69], v[62:63], -v[70:71]
	s_delay_alu instid0(VALU_DEP_2) | instskip(SKIP_1) | instid1(VALU_DEP_1)
	v_add_f64 v[8:9], v[0:1], v[74:75]
	v_add_f64 v[0:1], v[43:44], v[66:67]
	v_add_f64 v[10:11], v[0:1], v[76:77]
	s_delay_alu instid0(VALU_DEP_3) | instskip(SKIP_2) | instid1(VALU_DEP_4)
	v_add_f64 v[0:1], v[4:5], v[8:9]
	v_add_f64 v[4:5], v[4:5], -v[8:9]
	v_add_f64 v[8:9], v[82:83], v[90:91]
	v_add_f64 v[2:3], v[6:7], v[10:11]
	v_add_f64 v[6:7], v[6:7], -v[10:11]
	v_add_f64 v[10:11], v[39:40], v[84:85]
	s_delay_alu instid0(VALU_DEP_4) | instskip(SKIP_2) | instid1(VALU_DEP_4)
	v_fma_f64 v[160:161], v[8:9], -0.5, v[37:38]
	v_add_f64 v[8:9], v[84:85], v[92:93]
	v_add_f64 v[84:85], v[84:85], -v[92:93]
	v_add_f64 v[14:15], v[10:11], v[92:93]
	s_delay_alu instid0(VALU_DEP_3) | instskip(SKIP_2) | instid1(VALU_DEP_2)
	v_fma_f64 v[162:163], v[8:9], -0.5, v[39:40]
	v_add_f64 v[8:9], v[37:38], v[82:83]
	v_add_f64 v[82:83], v[82:83], -v[90:91]
	v_add_f64 v[12:13], v[8:9], v[90:91]
	v_add_f64 v[8:9], v[78:79], v[86:87]
	s_delay_alu instid0(VALU_DEP_3) | instskip(NEXT) | instid1(VALU_DEP_2)
	v_fma_f64 v[92:93], v[82:83], s[2:3], v[162:163]
	v_add_f64 v[21:22], v[8:9], v[94:95]
	v_add_f64 v[8:9], v[80:81], v[88:89]
	s_delay_alu instid0(VALU_DEP_1) | instskip(NEXT) | instid1(VALU_DEP_3)
	v_add_f64 v[23:24], v[8:9], v[96:97]
	v_add_f64 v[8:9], v[12:13], v[21:22]
	v_add_f64 v[12:13], v[12:13], -v[21:22]
	s_delay_alu instid0(VALU_DEP_3)
	v_add_f64 v[10:11], v[14:15], v[23:24]
	v_add_f64 v[14:15], v[14:15], -v[23:24]
	ds_load_b128 v[21:24], v177
	ds_load_b128 v[25:28], v176
	s_waitcnt lgkmcnt(0)
	s_barrier
	buffer_gl0_inv
	v_fma_f64 v[164:165], v[29:30], -0.5, v[21:22]
	v_add_f64 v[29:30], v[104:105], v[112:113]
	v_add_f64 v[21:22], v[21:22], v[102:103]
	v_add_f64 v[102:103], v[102:103], -v[110:111]
	s_delay_alu instid0(VALU_DEP_3) | instskip(NEXT) | instid1(VALU_DEP_3)
	v_fma_f64 v[166:167], v[29:30], -0.5, v[23:24]
	v_add_f64 v[29:30], v[21:22], v[110:111]
	v_add_f64 v[21:22], v[98:99], v[106:107]
	;; [unrolled: 1-line block ×3, first 2 shown]
	v_add_f64 v[104:105], v[104:105], -v[112:113]
	v_fma_f64 v[110:111], v[102:103], s[2:3], v[166:167]
	s_delay_alu instid0(VALU_DEP_4) | instskip(SKIP_2) | instid1(VALU_DEP_2)
	v_add_f64 v[33:34], v[21:22], v[116:117]
	v_add_f64 v[21:22], v[100:101], v[108:109]
	;; [unrolled: 1-line block ×4, first 2 shown]
	s_delay_alu instid0(VALU_DEP_4) | instskip(SKIP_2) | instid1(VALU_DEP_4)
	v_add_f64 v[21:22], v[29:30], v[33:34]
	v_add_f64 v[29:30], v[29:30], -v[33:34]
	v_add_f64 v[33:34], v[124:125], v[130:131]
	v_add_f64 v[23:24], v[31:32], v[35:36]
	v_add_f64 v[31:32], v[31:32], -v[35:36]
	s_delay_alu instid0(VALU_DEP_3) | instskip(SKIP_2) | instid1(VALU_DEP_2)
	v_fma_f64 v[182:183], v[33:34], -0.5, v[25:26]
	v_add_f64 v[33:34], v[126:127], v[132:133]
	v_add_f64 v[25:26], v[25:26], v[124:125]
	v_fma_f64 v[184:185], v[33:34], -0.5, v[27:28]
	s_delay_alu instid0(VALU_DEP_2) | instskip(SKIP_2) | instid1(VALU_DEP_2)
	v_add_f64 v[33:34], v[25:26], v[130:131]
	v_add_f64 v[25:26], v[120:121], v[114:115]
	;; [unrolled: 1-line block ×5, first 2 shown]
	s_delay_alu instid0(VALU_DEP_3) | instskip(NEXT) | instid1(VALU_DEP_2)
	v_add_f64 v[35:36], v[27:28], v[132:133]
	v_add_f64 v[39:40], v[25:26], v[136:137]
	s_delay_alu instid0(VALU_DEP_4) | instskip(SKIP_2) | instid1(VALU_DEP_4)
	v_add_f64 v[25:26], v[33:34], v[37:38]
	v_add_f64 v[33:34], v[33:34], -v[37:38]
	v_add_f64 v[37:38], v[142:143], v[150:151]
	v_add_f64 v[27:28], v[35:36], v[39:40]
	v_add_f64 v[35:36], v[35:36], -v[39:40]
	s_delay_alu instid0(VALU_DEP_3) | instskip(SKIP_2) | instid1(VALU_DEP_2)
	v_fma_f64 v[186:187], v[37:38], -0.5, v[17:18]
	v_add_f64 v[37:38], v[144:145], v[152:153]
	v_add_f64 v[17:18], v[17:18], v[142:143]
	v_fma_f64 v[188:189], v[37:38], -0.5, v[19:20]
	s_delay_alu instid0(VALU_DEP_2) | instskip(SKIP_2) | instid1(VALU_DEP_2)
	v_add_f64 v[37:38], v[17:18], v[150:151]
	v_add_f64 v[17:18], v[138:139], v[146:147]
	;; [unrolled: 1-line block ×5, first 2 shown]
	s_delay_alu instid0(VALU_DEP_3) | instskip(NEXT) | instid1(VALU_DEP_2)
	v_add_f64 v[39:40], v[19:20], v[152:153]
	v_add_f64 v[192:193], v[17:18], v[156:157]
	s_delay_alu instid0(VALU_DEP_4)
	v_add_f64 v[17:18], v[37:38], v[190:191]
	v_add_f64 v[37:38], v[37:38], -v[190:191]
	v_add_f64 v[190:191], v[64:65], v[74:75]
	v_add_f64 v[74:75], v[64:65], -v[74:75]
	;; [unrolled: 2-line block ×4, first 2 shown]
	v_fma_f64 v[70:71], v[190:191], -0.5, v[41:42]
	v_fma_f64 v[190:191], v[45:46], s[2:3], v[158:159]
	v_fma_f64 v[192:193], v[64:65], -0.5, v[43:44]
	v_fma_f64 v[45:46], v[45:46], s[6:7], v[158:159]
	s_delay_alu instid0(VALU_DEP_4) | instskip(SKIP_1) | instid1(VALU_DEP_4)
	v_fma_f64 v[62:63], v[66:67], s[6:7], v[70:71]
	v_fma_f64 v[66:67], v[66:67], s[2:3], v[70:71]
	;; [unrolled: 1-line block ×5, first 2 shown]
	s_delay_alu instid0(VALU_DEP_3) | instskip(SKIP_1) | instid1(VALU_DEP_2)
	v_mul_f64 v[43:44], v[41:42], s[6:7]
	v_mul_f64 v[41:42], v[41:42], 0.5
	v_fma_f64 v[64:65], v[62:63], 0.5, v[43:44]
	s_delay_alu instid0(VALU_DEP_2) | instskip(SKIP_3) | instid1(VALU_DEP_4)
	v_fma_f64 v[76:77], v[62:63], s[2:3], v[41:42]
	v_fma_f64 v[62:63], v[68:69], s[6:7], v[72:73]
	v_mul_f64 v[68:69], v[74:75], s[6:7]
	v_mul_f64 v[72:73], v[74:75], -0.5
	v_add_f64 v[43:44], v[190:191], v[76:77]
	s_delay_alu instid0(VALU_DEP_4) | instskip(NEXT) | instid1(VALU_DEP_4)
	v_add_f64 v[41:42], v[62:63], v[64:65]
	v_fma_f64 v[74:75], v[66:67], -0.5, v[68:69]
	s_delay_alu instid0(VALU_DEP_4) | instskip(SKIP_2) | instid1(VALU_DEP_4)
	v_fma_f64 v[72:73], v[66:67], s[2:3], v[72:73]
	v_add_f64 v[62:63], v[62:63], -v[64:65]
	v_add_f64 v[64:65], v[190:191], -v[76:77]
	v_add_f64 v[66:67], v[70:71], v[74:75]
	v_add_f64 v[70:71], v[70:71], -v[74:75]
	v_add_f64 v[74:75], v[88:89], v[96:97]
	v_add_f64 v[68:69], v[45:46], v[72:73]
	v_add_f64 v[72:73], v[45:46], -v[72:73]
	v_add_f64 v[45:46], v[86:87], v[94:95]
	v_add_f64 v[86:87], v[86:87], -v[94:95]
	v_add_f64 v[88:89], v[88:89], -v[96:97]
	v_fma_f64 v[94:95], v[74:75], -0.5, v[80:81]
	s_delay_alu instid0(VALU_DEP_4) | instskip(NEXT) | instid1(VALU_DEP_2)
	v_fma_f64 v[45:46], v[45:46], -0.5, v[78:79]
	v_fma_f64 v[74:75], v[86:87], s[2:3], v[94:95]
	v_fma_f64 v[86:87], v[86:87], s[6:7], v[94:95]
	s_delay_alu instid0(VALU_DEP_3) | instskip(SKIP_4) | instid1(VALU_DEP_2)
	v_fma_f64 v[78:79], v[88:89], s[6:7], v[45:46]
	v_fma_f64 v[45:46], v[88:89], s[2:3], v[45:46]
	;; [unrolled: 1-line block ×3, first 2 shown]
	v_mul_f64 v[76:77], v[74:75], s[6:7]
	v_mul_f64 v[74:75], v[74:75], 0.5
	v_fma_f64 v[80:81], v[78:79], 0.5, v[76:77]
	s_delay_alu instid0(VALU_DEP_2) | instskip(SKIP_2) | instid1(VALU_DEP_3)
	v_fma_f64 v[90:91], v[78:79], s[2:3], v[74:75]
	v_fma_f64 v[78:79], v[84:85], s[6:7], v[160:161]
	v_mul_f64 v[84:85], v[86:87], -0.5
	v_add_f64 v[76:77], v[92:93], v[90:91]
	s_delay_alu instid0(VALU_DEP_3) | instskip(SKIP_4) | instid1(VALU_DEP_1)
	v_add_f64 v[74:75], v[78:79], v[80:81]
	v_add_f64 v[78:79], v[78:79], -v[80:81]
	v_add_f64 v[80:81], v[92:93], -v[90:91]
	v_fma_f64 v[90:91], v[82:83], s[6:7], v[162:163]
	v_mul_f64 v[82:83], v[86:87], s[6:7]
	v_fma_f64 v[86:87], v[45:46], -0.5, v[82:83]
	v_fma_f64 v[45:46], v[45:46], s[2:3], v[84:85]
	s_delay_alu instid0(VALU_DEP_2) | instskip(NEXT) | instid1(VALU_DEP_2)
	v_add_f64 v[82:83], v[88:89], v[86:87]
	v_add_f64 v[84:85], v[90:91], v[45:46]
	v_add_f64 v[86:87], v[88:89], -v[86:87]
	v_add_f64 v[88:89], v[90:91], -v[45:46]
	v_add_f64 v[90:91], v[108:109], v[118:119]
	v_add_f64 v[45:46], v[106:107], v[116:117]
	v_add_f64 v[106:107], v[106:107], -v[116:117]
	v_add_f64 v[108:109], v[108:109], -v[118:119]
	v_add_f64 v[118:119], v[124:125], -v[130:131]
	v_add_f64 v[124:125], v[128:129], -v[136:137]
	v_add_f64 v[130:131], v[146:147], -v[154:155]
	v_fma_f64 v[100:101], v[90:91], -0.5, v[100:101]
	v_fma_f64 v[45:46], v[45:46], -0.5, v[98:99]
	s_delay_alu instid0(VALU_DEP_2) | instskip(NEXT) | instid1(VALU_DEP_2)
	v_fma_f64 v[90:91], v[106:107], s[2:3], v[100:101]
	v_fma_f64 v[94:95], v[108:109], s[6:7], v[45:46]
	;; [unrolled: 1-line block ×3, first 2 shown]
	s_delay_alu instid0(VALU_DEP_3) | instskip(SKIP_1) | instid1(VALU_DEP_2)
	v_mul_f64 v[92:93], v[90:91], s[6:7]
	v_mul_f64 v[90:91], v[90:91], 0.5
	v_fma_f64 v[96:97], v[94:95], 0.5, v[92:93]
	s_delay_alu instid0(VALU_DEP_2) | instskip(SKIP_2) | instid1(VALU_DEP_3)
	v_fma_f64 v[98:99], v[94:95], s[2:3], v[90:91]
	v_fma_f64 v[94:95], v[104:105], s[6:7], v[164:165]
	;; [unrolled: 1-line block ×3, first 2 shown]
	v_add_f64 v[92:93], v[110:111], v[98:99]
	s_delay_alu instid0(VALU_DEP_3) | instskip(SKIP_4) | instid1(VALU_DEP_2)
	v_add_f64 v[90:91], v[94:95], v[96:97]
	v_add_f64 v[94:95], v[94:95], -v[96:97]
	v_add_f64 v[96:97], v[110:111], -v[98:99]
	v_fma_f64 v[98:99], v[106:107], s[6:7], v[100:101]
	v_fma_f64 v[106:107], v[102:103], s[6:7], v[166:167]
	v_mul_f64 v[100:101], v[98:99], s[6:7]
	v_mul_f64 v[98:99], v[98:99], -0.5
	s_delay_alu instid0(VALU_DEP_2) | instskip(NEXT) | instid1(VALU_DEP_2)
	v_fma_f64 v[102:103], v[45:46], -0.5, v[100:101]
	v_fma_f64 v[45:46], v[45:46], s[2:3], v[98:99]
	s_delay_alu instid0(VALU_DEP_2) | instskip(NEXT) | instid1(VALU_DEP_2)
	v_add_f64 v[98:99], v[104:105], v[102:103]
	v_add_f64 v[100:101], v[106:107], v[45:46]
	v_add_f64 v[102:103], v[104:105], -v[102:103]
	v_add_f64 v[104:105], v[106:107], -v[45:46]
	v_add_f64 v[106:107], v[128:129], v[136:137]
	v_add_f64 v[45:46], v[114:115], v[134:135]
	v_add_f64 v[114:115], v[114:115], -v[134:135]
	v_add_f64 v[134:135], v[144:145], -v[152:153]
	;; [unrolled: 1-line block ×3, first 2 shown]
	v_fma_f64 v[116:117], v[106:107], -0.5, v[122:123]
	v_fma_f64 v[45:46], v[45:46], -0.5, v[120:121]
	v_add_f64 v[122:123], v[126:127], -v[132:133]
	v_fma_f64 v[126:127], v[118:119], s[2:3], v[184:185]
	v_fma_f64 v[142:143], v[136:137], s[2:3], v[188:189]
	;; [unrolled: 1-line block ×7, first 2 shown]
	s_delay_alu instid0(VALU_DEP_4) | instskip(SKIP_1) | instid1(VALU_DEP_4)
	v_mul_f64 v[108:109], v[106:107], s[6:7]
	v_mul_f64 v[106:107], v[106:107], 0.5
	v_mul_f64 v[116:117], v[114:115], s[6:7]
	v_mul_f64 v[114:115], v[114:115], -0.5
	s_delay_alu instid0(VALU_DEP_4) | instskip(NEXT) | instid1(VALU_DEP_4)
	v_fma_f64 v[112:113], v[110:111], 0.5, v[108:109]
	v_fma_f64 v[120:121], v[110:111], s[2:3], v[106:107]
	v_fma_f64 v[110:111], v[122:123], s[6:7], v[182:183]
	s_delay_alu instid0(VALU_DEP_2) | instskip(NEXT) | instid1(VALU_DEP_2)
	v_add_f64 v[108:109], v[126:127], v[120:121]
	v_add_f64 v[106:107], v[110:111], v[112:113]
	v_add_f64 v[110:111], v[110:111], -v[112:113]
	v_add_f64 v[112:113], v[126:127], -v[120:121]
	v_fma_f64 v[120:121], v[122:123], s[2:3], v[182:183]
	v_fma_f64 v[122:123], v[118:119], s[6:7], v[184:185]
	v_fma_f64 v[118:119], v[45:46], -0.5, v[116:117]
	v_fma_f64 v[45:46], v[45:46], s[2:3], v[114:115]
	s_delay_alu instid0(VALU_DEP_2) | instskip(NEXT) | instid1(VALU_DEP_2)
	v_add_f64 v[114:115], v[120:121], v[118:119]
	v_add_f64 v[116:117], v[122:123], v[45:46]
	v_add_f64 v[118:119], v[120:121], -v[118:119]
	v_add_f64 v[120:121], v[122:123], -v[45:46]
	v_add_f64 v[122:123], v[148:149], v[156:157]
	v_add_f64 v[45:46], v[146:147], v[154:155]
	s_delay_alu instid0(VALU_DEP_2) | instskip(SKIP_1) | instid1(VALU_DEP_3)
	v_fma_f64 v[132:133], v[122:123], -0.5, v[140:141]
	v_add_f64 v[140:141], v[148:149], -v[156:157]
	v_fma_f64 v[45:46], v[45:46], -0.5, v[138:139]
	s_delay_alu instid0(VALU_DEP_3) | instskip(SKIP_1) | instid1(VALU_DEP_3)
	v_fma_f64 v[122:123], v[130:131], s[2:3], v[132:133]
	v_fma_f64 v[130:131], v[130:131], s[6:7], v[132:133]
	;; [unrolled: 1-line block ×4, first 2 shown]
	s_delay_alu instid0(VALU_DEP_4) | instskip(SKIP_3) | instid1(VALU_DEP_4)
	v_mul_f64 v[124:125], v[122:123], s[6:7]
	v_mul_f64 v[122:123], v[122:123], 0.5
	v_mul_f64 v[132:133], v[130:131], s[6:7]
	v_mul_f64 v[130:131], v[130:131], -0.5
	v_fma_f64 v[128:129], v[126:127], 0.5, v[124:125]
	s_delay_alu instid0(VALU_DEP_4) | instskip(SKIP_2) | instid1(VALU_DEP_3)
	v_fma_f64 v[138:139], v[126:127], s[2:3], v[122:123]
	v_fma_f64 v[126:127], v[134:135], s[6:7], v[186:187]
	;; [unrolled: 1-line block ×3, first 2 shown]
	v_add_f64 v[124:125], v[142:143], v[138:139]
	s_delay_alu instid0(VALU_DEP_3)
	v_add_f64 v[122:123], v[126:127], v[128:129]
	v_add_f64 v[126:127], v[126:127], -v[128:129]
	v_add_f64 v[128:129], v[142:143], -v[138:139]
	v_fma_f64 v[138:139], v[45:46], -0.5, v[132:133]
	v_fma_f64 v[45:46], v[45:46], s[2:3], v[130:131]
	s_addc_u32 s2, s5, 0
	s_mov_b32 s3, exec_lo
	s_delay_alu instid0(VALU_DEP_2) | instskip(NEXT) | instid1(VALU_DEP_2)
	v_add_f64 v[130:131], v[134:135], v[138:139]
	v_add_f64 v[132:133], v[136:137], v[45:46]
	v_add_f64 v[134:135], v[134:135], -v[138:139]
	v_add_f64 v[136:137], v[136:137], -v[45:46]
	ds_store_b128 v168, v[0:3]
	ds_store_b128 v168, v[41:44] offset:8640
	ds_store_b128 v168, v[4:7] offset:25920
	ds_store_b128 v168, v[66:69] offset:17280
	ds_store_b128 v168, v[62:65] offset:34560
	ds_store_b128 v168, v[70:73] offset:43200
	ds_store_b128 v174, v[8:11]
	ds_store_b128 v174, v[74:77] offset:8640
	ds_store_b128 v174, v[82:85] offset:17280
	ds_store_b128 v174, v[12:15] offset:25920
	ds_store_b128 v174, v[78:81] offset:34560
	ds_store_b128 v174, v[86:89] offset:43200
	;; [unrolled: 6-line block ×5, first 2 shown]
	s_waitcnt lgkmcnt(0)
	s_barrier
	buffer_gl0_inv
	ds_load_b128 v[4:7], v168
	v_sub_nc_u32_e32 v10, 0, v49
                                        ; implicit-def: $vgpr8_vgpr9
                                        ; implicit-def: $vgpr2_vgpr3
	v_cmpx_ne_u32_e32 0, v48
	s_xor_b32 s3, exec_lo, s3
	s_cbranch_execz .LBB0_15
; %bb.14:
	v_mov_b32_e32 v49, v16
	s_delay_alu instid0(VALU_DEP_1) | instskip(NEXT) | instid1(VALU_DEP_1)
	v_lshlrev_b64 v[0:1], 4, v[48:49]
	v_add_co_u32 v0, s0, s1, v0
	s_delay_alu instid0(VALU_DEP_1)
	v_add_co_ci_u32_e64 v1, s0, s2, v1, s0
	global_load_b128 v[11:14], v[0:1], off
	ds_load_b128 v[0:3], v10 offset:51840
	s_waitcnt lgkmcnt(0)
	v_add_f64 v[8:9], v[4:5], -v[0:1]
	v_add_f64 v[15:16], v[6:7], v[2:3]
	v_add_f64 v[2:3], v[6:7], -v[2:3]
	v_add_f64 v[0:1], v[4:5], v[0:1]
	s_delay_alu instid0(VALU_DEP_4) | instskip(NEXT) | instid1(VALU_DEP_4)
	v_mul_f64 v[6:7], v[8:9], 0.5
	v_mul_f64 v[4:5], v[15:16], 0.5
	s_delay_alu instid0(VALU_DEP_4) | instskip(SKIP_1) | instid1(VALU_DEP_3)
	v_mul_f64 v[2:3], v[2:3], 0.5
	s_waitcnt vmcnt(0)
	v_mul_f64 v[8:9], v[6:7], v[13:14]
	s_delay_alu instid0(VALU_DEP_2) | instskip(SKIP_1) | instid1(VALU_DEP_3)
	v_fma_f64 v[15:16], v[4:5], v[13:14], v[2:3]
	v_fma_f64 v[2:3], v[4:5], v[13:14], -v[2:3]
	v_fma_f64 v[17:18], v[0:1], 0.5, v[8:9]
	v_fma_f64 v[0:1], v[0:1], 0.5, -v[8:9]
	s_delay_alu instid0(VALU_DEP_4) | instskip(NEXT) | instid1(VALU_DEP_4)
	v_fma_f64 v[8:9], -v[11:12], v[6:7], v[15:16]
	v_fma_f64 v[2:3], -v[11:12], v[6:7], v[2:3]
	s_delay_alu instid0(VALU_DEP_4) | instskip(NEXT) | instid1(VALU_DEP_4)
	v_fma_f64 v[13:14], v[4:5], v[11:12], v[17:18]
	v_fma_f64 v[0:1], -v[4:5], v[11:12], v[0:1]
                                        ; implicit-def: $vgpr4_vgpr5
	ds_store_b64 v168, v[13:14]
.LBB0_15:
	s_or_saveexec_b32 s0, s3
	v_sub_nc_u32_e32 v15, 0, v181
	v_sub_nc_u32_e32 v14, 0, v180
	;; [unrolled: 1-line block ×5, first 2 shown]
	s_xor_b32 exec_lo, exec_lo, s0
	s_cbranch_execz .LBB0_17
; %bb.16:
	s_waitcnt lgkmcnt(0)
	v_add_f64 v[16:17], v[4:5], v[6:7]
	v_add_f64 v[0:1], v[4:5], -v[6:7]
	v_mov_b32_e32 v6, 0
	v_mov_b32_e32 v8, 0
	;; [unrolled: 1-line block ×3, first 2 shown]
	s_delay_alu instid0(VALU_DEP_2)
	v_mov_b32_e32 v2, v8
	ds_load_b64 v[4:5], v6 offset:25928
	v_mov_b32_e32 v3, v9
	s_waitcnt lgkmcnt(0)
	v_xor_b32_e32 v5, 0x80000000, v5
	ds_store_b64 v168, v[16:17]
	ds_store_b64 v6, v[4:5] offset:25928
.LBB0_17:
	s_or_b32 exec_lo, exec_lo, s0
	v_mov_b32_e32 v51, 0
	v_add_nc_u32_e32 v13, v171, v13
	v_add_nc_u32_e32 v15, v173, v15
	;; [unrolled: 1-line block ×3, first 2 shown]
	s_waitcnt lgkmcnt(0)
	v_lshlrev_b64 v[4:5], 4, v[50:51]
	v_mov_b32_e32 v62, v51
	v_add_nc_u32_e32 v50, 0x438, v48
	s_delay_alu instid0(VALU_DEP_3) | instskip(NEXT) | instid1(VALU_DEP_1)
	v_add_co_u32 v4, s0, s1, v4
	v_add_co_ci_u32_e64 v5, s0, s2, v5, s0
	s_delay_alu instid0(VALU_DEP_4) | instskip(SKIP_3) | instid1(VALU_DEP_1)
	v_lshlrev_b64 v[16:17], 4, v[61:62]
	v_mov_b32_e32 v61, v51
	global_load_b128 v[4:7], v[4:5], off
	v_add_co_u32 v16, s0, s1, v16
	v_add_co_ci_u32_e64 v17, s0, s2, v17, s0
	global_load_b128 v[16:19], v[16:17], off
	ds_store_b64 v168, v[8:9] offset:8
	ds_store_b128 v10, v[0:3] offset:51840
	ds_load_b128 v[0:3], v174
	ds_load_b128 v[20:23], v10 offset:50112
	s_waitcnt lgkmcnt(0)
	v_add_f64 v[8:9], v[0:1], -v[20:21]
	v_add_f64 v[24:25], v[2:3], v[22:23]
	v_add_f64 v[2:3], v[2:3], -v[22:23]
	v_add_f64 v[0:1], v[0:1], v[20:21]
	s_delay_alu instid0(VALU_DEP_4) | instskip(NEXT) | instid1(VALU_DEP_4)
	v_mul_f64 v[8:9], v[8:9], 0.5
	v_mul_f64 v[22:23], v[24:25], 0.5
	s_delay_alu instid0(VALU_DEP_4) | instskip(SKIP_1) | instid1(VALU_DEP_3)
	v_mul_f64 v[2:3], v[2:3], 0.5
	s_waitcnt vmcnt(1)
	v_mul_f64 v[20:21], v[8:9], v[6:7]
	s_delay_alu instid0(VALU_DEP_2) | instskip(SKIP_1) | instid1(VALU_DEP_3)
	v_fma_f64 v[24:25], v[22:23], v[6:7], v[2:3]
	v_fma_f64 v[6:7], v[22:23], v[6:7], -v[2:3]
	v_fma_f64 v[26:27], v[0:1], 0.5, v[20:21]
	v_fma_f64 v[20:21], v[0:1], 0.5, -v[20:21]
	s_delay_alu instid0(VALU_DEP_4) | instskip(NEXT) | instid1(VALU_DEP_4)
	v_fma_f64 v[2:3], -v[4:5], v[8:9], v[24:25]
	v_fma_f64 v[6:7], -v[4:5], v[8:9], v[6:7]
	v_lshlrev_b64 v[8:9], 4, v[60:61]
	v_mov_b32_e32 v60, v51
	s_delay_alu instid0(VALU_DEP_2) | instskip(NEXT) | instid1(VALU_DEP_1)
	v_add_co_u32 v8, s0, s1, v8
	v_add_co_ci_u32_e64 v9, s0, s2, v9, s0
	v_fma_f64 v[0:1], v[22:23], v[4:5], v[26:27]
	v_fma_f64 v[4:5], -v[22:23], v[4:5], v[20:21]
	global_load_b128 v[20:23], v[8:9], off
	ds_store_b128 v174, v[0:3]
	ds_store_b128 v10, v[4:7] offset:50112
	ds_load_b128 v[0:3], v177
	ds_load_b128 v[4:7], v10 offset:48384
	s_waitcnt lgkmcnt(0)
	v_add_f64 v[8:9], v[0:1], -v[4:5]
	v_add_f64 v[24:25], v[2:3], v[6:7]
	v_add_f64 v[2:3], v[2:3], -v[6:7]
	v_add_f64 v[0:1], v[0:1], v[4:5]
	s_delay_alu instid0(VALU_DEP_4) | instskip(NEXT) | instid1(VALU_DEP_4)
	v_mul_f64 v[6:7], v[8:9], 0.5
	v_mul_f64 v[8:9], v[24:25], 0.5
	s_delay_alu instid0(VALU_DEP_4) | instskip(SKIP_1) | instid1(VALU_DEP_3)
	v_mul_f64 v[2:3], v[2:3], 0.5
	s_waitcnt vmcnt(1)
	v_mul_f64 v[4:5], v[6:7], v[18:19]
	s_delay_alu instid0(VALU_DEP_2) | instskip(SKIP_1) | instid1(VALU_DEP_3)
	v_fma_f64 v[24:25], v[8:9], v[18:19], v[2:3]
	v_fma_f64 v[18:19], v[8:9], v[18:19], -v[2:3]
	v_fma_f64 v[26:27], v[0:1], 0.5, v[4:5]
	v_fma_f64 v[4:5], v[0:1], 0.5, -v[4:5]
	s_delay_alu instid0(VALU_DEP_4) | instskip(NEXT) | instid1(VALU_DEP_4)
	v_fma_f64 v[2:3], -v[16:17], v[6:7], v[24:25]
	v_fma_f64 v[6:7], -v[16:17], v[6:7], v[18:19]
	s_delay_alu instid0(VALU_DEP_4) | instskip(NEXT) | instid1(VALU_DEP_4)
	v_fma_f64 v[0:1], v[8:9], v[16:17], v[26:27]
	v_fma_f64 v[4:5], -v[8:9], v[16:17], v[4:5]
	v_lshlrev_b64 v[8:9], 4, v[59:60]
	v_mov_b32_e32 v59, v51
	s_delay_alu instid0(VALU_DEP_2) | instskip(NEXT) | instid1(VALU_DEP_1)
	v_add_co_u32 v8, s0, s1, v8
	v_add_co_ci_u32_e64 v9, s0, s2, v9, s0
	global_load_b128 v[16:19], v[8:9], off
	ds_store_b128 v177, v[0:3]
	ds_store_b128 v10, v[4:7] offset:48384
	ds_load_b128 v[0:3], v176
	ds_load_b128 v[4:7], v10 offset:46656
	s_waitcnt lgkmcnt(0)
	v_add_f64 v[8:9], v[0:1], -v[4:5]
	v_add_f64 v[24:25], v[2:3], v[6:7]
	v_add_f64 v[2:3], v[2:3], -v[6:7]
	v_add_f64 v[0:1], v[0:1], v[4:5]
	s_delay_alu instid0(VALU_DEP_4) | instskip(NEXT) | instid1(VALU_DEP_4)
	v_mul_f64 v[6:7], v[8:9], 0.5
	v_mul_f64 v[8:9], v[24:25], 0.5
	s_delay_alu instid0(VALU_DEP_4) | instskip(SKIP_1) | instid1(VALU_DEP_3)
	v_mul_f64 v[2:3], v[2:3], 0.5
	s_waitcnt vmcnt(1)
	v_mul_f64 v[4:5], v[6:7], v[22:23]
	s_delay_alu instid0(VALU_DEP_2) | instskip(SKIP_1) | instid1(VALU_DEP_3)
	v_fma_f64 v[24:25], v[8:9], v[22:23], v[2:3]
	v_fma_f64 v[22:23], v[8:9], v[22:23], -v[2:3]
	v_fma_f64 v[26:27], v[0:1], 0.5, v[4:5]
	v_fma_f64 v[4:5], v[0:1], 0.5, -v[4:5]
	s_delay_alu instid0(VALU_DEP_4) | instskip(NEXT) | instid1(VALU_DEP_4)
	v_fma_f64 v[2:3], -v[20:21], v[6:7], v[24:25]
	v_fma_f64 v[6:7], -v[20:21], v[6:7], v[22:23]
	s_delay_alu instid0(VALU_DEP_4) | instskip(NEXT) | instid1(VALU_DEP_4)
	v_fma_f64 v[0:1], v[8:9], v[20:21], v[26:27]
	v_fma_f64 v[4:5], -v[8:9], v[20:21], v[4:5]
	v_lshlrev_b64 v[8:9], 4, v[58:59]
	v_mov_b32_e32 v58, v51
	s_delay_alu instid0(VALU_DEP_2) | instskip(NEXT) | instid1(VALU_DEP_1)
	v_add_co_u32 v8, s0, s1, v8
	v_add_co_ci_u32_e64 v9, s0, s2, v9, s0
	global_load_b128 v[20:23], v[8:9], off
	ds_store_b128 v176, v[0:3]
	ds_store_b128 v10, v[4:7] offset:46656
	ds_load_b128 v[0:3], v175
	ds_load_b128 v[4:7], v10 offset:44928
	s_waitcnt lgkmcnt(0)
	v_add_f64 v[8:9], v[0:1], -v[4:5]
	v_add_f64 v[24:25], v[2:3], v[6:7]
	v_add_f64 v[2:3], v[2:3], -v[6:7]
	v_add_f64 v[0:1], v[0:1], v[4:5]
	s_delay_alu instid0(VALU_DEP_4) | instskip(NEXT) | instid1(VALU_DEP_4)
	v_mul_f64 v[6:7], v[8:9], 0.5
	v_mul_f64 v[8:9], v[24:25], 0.5
	s_delay_alu instid0(VALU_DEP_4) | instskip(SKIP_1) | instid1(VALU_DEP_3)
	v_mul_f64 v[2:3], v[2:3], 0.5
	s_waitcnt vmcnt(1)
	v_mul_f64 v[4:5], v[6:7], v[18:19]
	s_delay_alu instid0(VALU_DEP_2) | instskip(SKIP_1) | instid1(VALU_DEP_3)
	v_fma_f64 v[24:25], v[8:9], v[18:19], v[2:3]
	v_fma_f64 v[18:19], v[8:9], v[18:19], -v[2:3]
	v_fma_f64 v[26:27], v[0:1], 0.5, v[4:5]
	v_fma_f64 v[4:5], v[0:1], 0.5, -v[4:5]
	s_delay_alu instid0(VALU_DEP_4) | instskip(NEXT) | instid1(VALU_DEP_4)
	v_fma_f64 v[2:3], -v[16:17], v[6:7], v[24:25]
	v_fma_f64 v[6:7], -v[16:17], v[6:7], v[18:19]
	s_delay_alu instid0(VALU_DEP_4) | instskip(NEXT) | instid1(VALU_DEP_4)
	v_fma_f64 v[0:1], v[8:9], v[16:17], v[26:27]
	v_fma_f64 v[4:5], -v[8:9], v[16:17], v[4:5]
	v_lshlrev_b64 v[8:9], 4, v[57:58]
	s_delay_alu instid0(VALU_DEP_1) | instskip(NEXT) | instid1(VALU_DEP_1)
	v_add_co_u32 v8, s0, s1, v8
	v_add_co_ci_u32_e64 v9, s0, s2, v9, s0
	global_load_b128 v[16:19], v[8:9], off
	ds_store_b128 v175, v[0:3]
	ds_store_b128 v10, v[4:7] offset:44928
	ds_load_b128 v[0:3], v15
	ds_load_b128 v[4:7], v10 offset:43200
	s_waitcnt lgkmcnt(0)
	v_add_f64 v[8:9], v[0:1], -v[4:5]
	v_add_f64 v[24:25], v[2:3], v[6:7]
	v_add_f64 v[2:3], v[2:3], -v[6:7]
	v_add_f64 v[0:1], v[0:1], v[4:5]
	s_delay_alu instid0(VALU_DEP_4) | instskip(NEXT) | instid1(VALU_DEP_4)
	v_mul_f64 v[6:7], v[8:9], 0.5
	v_mul_f64 v[8:9], v[24:25], 0.5
	s_delay_alu instid0(VALU_DEP_4) | instskip(SKIP_1) | instid1(VALU_DEP_3)
	v_mul_f64 v[2:3], v[2:3], 0.5
	s_waitcnt vmcnt(1)
	v_mul_f64 v[4:5], v[6:7], v[22:23]
	s_delay_alu instid0(VALU_DEP_2) | instskip(SKIP_1) | instid1(VALU_DEP_3)
	v_fma_f64 v[24:25], v[8:9], v[22:23], v[2:3]
	v_fma_f64 v[22:23], v[8:9], v[22:23], -v[2:3]
	v_fma_f64 v[26:27], v[0:1], 0.5, v[4:5]
	v_fma_f64 v[4:5], v[0:1], 0.5, -v[4:5]
	s_delay_alu instid0(VALU_DEP_4) | instskip(NEXT) | instid1(VALU_DEP_4)
	v_fma_f64 v[2:3], -v[20:21], v[6:7], v[24:25]
	v_fma_f64 v[6:7], -v[20:21], v[6:7], v[22:23]
	s_delay_alu instid0(VALU_DEP_4) | instskip(NEXT) | instid1(VALU_DEP_4)
	v_fma_f64 v[0:1], v[8:9], v[20:21], v[26:27]
	v_fma_f64 v[4:5], -v[8:9], v[20:21], v[4:5]
	v_dual_mov_b32 v57, v51 :: v_dual_add_nc_u32 v26, v172, v14
	s_delay_alu instid0(VALU_DEP_1) | instskip(SKIP_1) | instid1(VALU_DEP_2)
	v_lshlrev_b64 v[8:9], 4, v[56:57]
	v_mov_b32_e32 v56, v51
	v_add_co_u32 v8, s0, s1, v8
	s_delay_alu instid0(VALU_DEP_1)
	v_add_co_ci_u32_e64 v9, s0, s2, v9, s0
	global_load_b128 v[20:23], v[8:9], off
	ds_store_b128 v15, v[0:3]
	ds_store_b128 v10, v[4:7] offset:43200
	ds_load_b128 v[0:3], v26
	ds_load_b128 v[4:7], v10 offset:41472
	s_waitcnt lgkmcnt(0)
	v_add_f64 v[8:9], v[0:1], -v[4:5]
	v_add_f64 v[14:15], v[2:3], v[6:7]
	v_add_f64 v[2:3], v[2:3], -v[6:7]
	v_add_f64 v[0:1], v[0:1], v[4:5]
	s_delay_alu instid0(VALU_DEP_4) | instskip(NEXT) | instid1(VALU_DEP_4)
	v_mul_f64 v[6:7], v[8:9], 0.5
	v_mul_f64 v[8:9], v[14:15], 0.5
	s_delay_alu instid0(VALU_DEP_4) | instskip(SKIP_1) | instid1(VALU_DEP_3)
	v_mul_f64 v[2:3], v[2:3], 0.5
	s_waitcnt vmcnt(1)
	v_mul_f64 v[4:5], v[6:7], v[18:19]
	s_delay_alu instid0(VALU_DEP_2) | instskip(SKIP_1) | instid1(VALU_DEP_3)
	v_fma_f64 v[14:15], v[8:9], v[18:19], v[2:3]
	v_fma_f64 v[18:19], v[8:9], v[18:19], -v[2:3]
	v_fma_f64 v[24:25], v[0:1], 0.5, v[4:5]
	v_fma_f64 v[4:5], v[0:1], 0.5, -v[4:5]
	s_delay_alu instid0(VALU_DEP_4) | instskip(NEXT) | instid1(VALU_DEP_4)
	v_fma_f64 v[2:3], -v[16:17], v[6:7], v[14:15]
	v_fma_f64 v[6:7], -v[16:17], v[6:7], v[18:19]
	s_delay_alu instid0(VALU_DEP_4) | instskip(NEXT) | instid1(VALU_DEP_4)
	v_fma_f64 v[0:1], v[8:9], v[16:17], v[24:25]
	v_fma_f64 v[4:5], -v[8:9], v[16:17], v[4:5]
	v_lshlrev_b64 v[8:9], 4, v[55:56]
	v_mov_b32_e32 v55, v51
	s_delay_alu instid0(VALU_DEP_2) | instskip(NEXT) | instid1(VALU_DEP_1)
	v_add_co_u32 v8, s0, s1, v8
	v_add_co_ci_u32_e64 v9, s0, s2, v9, s0
	global_load_b128 v[14:17], v[8:9], off
	ds_store_b128 v26, v[0:3]
	ds_store_b128 v10, v[4:7] offset:41472
	ds_load_b128 v[0:3], v13
	ds_load_b128 v[4:7], v10 offset:39744
	s_waitcnt lgkmcnt(0)
	v_add_f64 v[8:9], v[0:1], -v[4:5]
	v_add_f64 v[18:19], v[2:3], v[6:7]
	v_add_f64 v[2:3], v[2:3], -v[6:7]
	v_add_f64 v[0:1], v[0:1], v[4:5]
	s_delay_alu instid0(VALU_DEP_4) | instskip(NEXT) | instid1(VALU_DEP_4)
	v_mul_f64 v[6:7], v[8:9], 0.5
	v_mul_f64 v[8:9], v[18:19], 0.5
	s_delay_alu instid0(VALU_DEP_4) | instskip(SKIP_1) | instid1(VALU_DEP_3)
	v_mul_f64 v[2:3], v[2:3], 0.5
	s_waitcnt vmcnt(1)
	v_mul_f64 v[4:5], v[6:7], v[22:23]
	s_delay_alu instid0(VALU_DEP_2) | instskip(SKIP_1) | instid1(VALU_DEP_3)
	v_fma_f64 v[18:19], v[8:9], v[22:23], v[2:3]
	v_fma_f64 v[22:23], v[8:9], v[22:23], -v[2:3]
	v_fma_f64 v[24:25], v[0:1], 0.5, v[4:5]
	v_fma_f64 v[4:5], v[0:1], 0.5, -v[4:5]
	s_delay_alu instid0(VALU_DEP_4) | instskip(NEXT) | instid1(VALU_DEP_4)
	v_fma_f64 v[2:3], -v[20:21], v[6:7], v[18:19]
	v_fma_f64 v[6:7], -v[20:21], v[6:7], v[22:23]
	s_delay_alu instid0(VALU_DEP_4) | instskip(NEXT) | instid1(VALU_DEP_4)
	v_fma_f64 v[0:1], v[8:9], v[20:21], v[24:25]
	v_fma_f64 v[4:5], -v[8:9], v[20:21], v[4:5]
	v_lshlrev_b64 v[8:9], 4, v[54:55]
	v_add_nc_u32_e32 v24, v170, v12
	s_delay_alu instid0(VALU_DEP_2) | instskip(NEXT) | instid1(VALU_DEP_1)
	v_add_co_u32 v8, s0, s1, v8
	v_add_co_ci_u32_e64 v9, s0, s2, v9, s0
	global_load_b128 v[18:21], v[8:9], off
	ds_store_b128 v13, v[0:3]
	ds_store_b128 v10, v[4:7] offset:39744
	ds_load_b128 v[0:3], v24
	ds_load_b128 v[4:7], v10 offset:38016
	s_waitcnt lgkmcnt(0)
	v_add_f64 v[8:9], v[0:1], -v[4:5]
	v_add_f64 v[12:13], v[2:3], v[6:7]
	v_add_f64 v[2:3], v[2:3], -v[6:7]
	v_add_f64 v[0:1], v[0:1], v[4:5]
	s_delay_alu instid0(VALU_DEP_4) | instskip(NEXT) | instid1(VALU_DEP_4)
	v_mul_f64 v[6:7], v[8:9], 0.5
	v_mul_f64 v[8:9], v[12:13], 0.5
	s_delay_alu instid0(VALU_DEP_4) | instskip(SKIP_1) | instid1(VALU_DEP_3)
	v_mul_f64 v[2:3], v[2:3], 0.5
	s_waitcnt vmcnt(1)
	v_mul_f64 v[4:5], v[6:7], v[16:17]
	s_delay_alu instid0(VALU_DEP_2) | instskip(SKIP_1) | instid1(VALU_DEP_3)
	v_fma_f64 v[12:13], v[8:9], v[16:17], v[2:3]
	v_fma_f64 v[16:17], v[8:9], v[16:17], -v[2:3]
	v_fma_f64 v[22:23], v[0:1], 0.5, v[4:5]
	v_fma_f64 v[4:5], v[0:1], 0.5, -v[4:5]
	s_delay_alu instid0(VALU_DEP_4) | instskip(NEXT) | instid1(VALU_DEP_4)
	v_fma_f64 v[2:3], -v[14:15], v[6:7], v[12:13]
	v_fma_f64 v[6:7], -v[14:15], v[6:7], v[16:17]
	s_delay_alu instid0(VALU_DEP_4) | instskip(NEXT) | instid1(VALU_DEP_4)
	v_fma_f64 v[0:1], v[8:9], v[14:15], v[22:23]
	v_fma_f64 v[4:5], -v[8:9], v[14:15], v[4:5]
	v_lshlrev_b64 v[8:9], 4, v[50:51]
	v_add_nc_u32_e32 v50, 0x4a4, v48
	;; [unrolled: 33-line block ×3, first 2 shown]
	s_delay_alu instid0(VALU_DEP_2) | instskip(NEXT) | instid1(VALU_DEP_1)
	v_add_co_u32 v8, s0, s1, v8
	v_add_co_ci_u32_e64 v9, s0, s2, v9, s0
	global_load_b128 v[16:19], v[8:9], off
	ds_store_b128 v11, v[0:3]
	ds_store_b128 v10, v[4:7] offset:36288
	ds_load_b128 v[0:3], v168 offset:17280
	ds_load_b128 v[4:7], v10 offset:34560
	s_waitcnt lgkmcnt(0)
	v_add_f64 v[8:9], v[0:1], -v[4:5]
	v_add_f64 v[20:21], v[2:3], v[6:7]
	v_add_f64 v[2:3], v[2:3], -v[6:7]
	v_add_f64 v[0:1], v[0:1], v[4:5]
	s_delay_alu instid0(VALU_DEP_4) | instskip(NEXT) | instid1(VALU_DEP_4)
	v_mul_f64 v[6:7], v[8:9], 0.5
	v_mul_f64 v[8:9], v[20:21], 0.5
	s_delay_alu instid0(VALU_DEP_4) | instskip(SKIP_1) | instid1(VALU_DEP_3)
	v_mul_f64 v[2:3], v[2:3], 0.5
	s_waitcnt vmcnt(1)
	v_mul_f64 v[4:5], v[6:7], v[14:15]
	s_delay_alu instid0(VALU_DEP_2) | instskip(SKIP_1) | instid1(VALU_DEP_3)
	v_fma_f64 v[20:21], v[8:9], v[14:15], v[2:3]
	v_fma_f64 v[14:15], v[8:9], v[14:15], -v[2:3]
	v_fma_f64 v[22:23], v[0:1], 0.5, v[4:5]
	v_fma_f64 v[4:5], v[0:1], 0.5, -v[4:5]
	s_delay_alu instid0(VALU_DEP_4) | instskip(NEXT) | instid1(VALU_DEP_4)
	v_fma_f64 v[2:3], -v[12:13], v[6:7], v[20:21]
	v_fma_f64 v[6:7], -v[12:13], v[6:7], v[14:15]
	s_delay_alu instid0(VALU_DEP_4) | instskip(NEXT) | instid1(VALU_DEP_4)
	v_fma_f64 v[0:1], v[8:9], v[12:13], v[22:23]
	v_fma_f64 v[4:5], -v[8:9], v[12:13], v[4:5]
	v_lshlrev_b64 v[8:9], 4, v[50:51]
	v_add_nc_u32_e32 v50, 0x57c, v48
	s_delay_alu instid0(VALU_DEP_2) | instskip(NEXT) | instid1(VALU_DEP_1)
	v_add_co_u32 v8, s0, s1, v8
	v_add_co_ci_u32_e64 v9, s0, s2, v9, s0
	global_load_b128 v[11:14], v[8:9], off
	ds_store_b128 v168, v[0:3] offset:17280
	ds_store_b128 v10, v[4:7] offset:34560
	ds_load_b128 v[0:3], v168 offset:19008
	ds_load_b128 v[4:7], v10 offset:32832
	s_waitcnt lgkmcnt(0)
	v_add_f64 v[8:9], v[0:1], -v[4:5]
	v_add_f64 v[20:21], v[2:3], v[6:7]
	v_add_f64 v[2:3], v[2:3], -v[6:7]
	v_add_f64 v[0:1], v[0:1], v[4:5]
	s_delay_alu instid0(VALU_DEP_4) | instskip(NEXT) | instid1(VALU_DEP_4)
	v_mul_f64 v[6:7], v[8:9], 0.5
	v_mul_f64 v[8:9], v[20:21], 0.5
	s_delay_alu instid0(VALU_DEP_4) | instskip(SKIP_1) | instid1(VALU_DEP_3)
	v_mul_f64 v[2:3], v[2:3], 0.5
	s_waitcnt vmcnt(1)
	v_mul_f64 v[4:5], v[6:7], v[18:19]
	s_delay_alu instid0(VALU_DEP_2) | instskip(SKIP_1) | instid1(VALU_DEP_3)
	v_fma_f64 v[20:21], v[8:9], v[18:19], v[2:3]
	v_fma_f64 v[18:19], v[8:9], v[18:19], -v[2:3]
	v_fma_f64 v[22:23], v[0:1], 0.5, v[4:5]
	v_fma_f64 v[4:5], v[0:1], 0.5, -v[4:5]
	s_delay_alu instid0(VALU_DEP_4) | instskip(NEXT) | instid1(VALU_DEP_4)
	v_fma_f64 v[2:3], -v[16:17], v[6:7], v[20:21]
	v_fma_f64 v[6:7], -v[16:17], v[6:7], v[18:19]
	s_delay_alu instid0(VALU_DEP_4) | instskip(NEXT) | instid1(VALU_DEP_4)
	v_fma_f64 v[0:1], v[8:9], v[16:17], v[22:23]
	v_fma_f64 v[4:5], -v[8:9], v[16:17], v[4:5]
	v_lshlrev_b64 v[8:9], 4, v[50:51]
	v_add_nc_u32_e32 v50, 0x5e8, v48
	s_delay_alu instid0(VALU_DEP_2) | instskip(NEXT) | instid1(VALU_DEP_1)
	v_add_co_u32 v8, s0, s1, v8
	v_add_co_ci_u32_e64 v9, s0, s2, v9, s0
	global_load_b128 v[15:18], v[8:9], off
	ds_store_b128 v168, v[0:3] offset:19008
	ds_store_b128 v10, v[4:7] offset:32832
	ds_load_b128 v[0:3], v168 offset:20736
	ds_load_b128 v[4:7], v10 offset:31104
	s_waitcnt lgkmcnt(0)
	v_add_f64 v[8:9], v[0:1], -v[4:5]
	v_add_f64 v[19:20], v[2:3], v[6:7]
	v_add_f64 v[2:3], v[2:3], -v[6:7]
	v_add_f64 v[0:1], v[0:1], v[4:5]
	s_delay_alu instid0(VALU_DEP_4) | instskip(NEXT) | instid1(VALU_DEP_4)
	v_mul_f64 v[6:7], v[8:9], 0.5
	v_mul_f64 v[8:9], v[19:20], 0.5
	s_delay_alu instid0(VALU_DEP_4) | instskip(SKIP_1) | instid1(VALU_DEP_3)
	v_mul_f64 v[2:3], v[2:3], 0.5
	s_waitcnt vmcnt(1)
	v_mul_f64 v[4:5], v[6:7], v[13:14]
	s_delay_alu instid0(VALU_DEP_2) | instskip(SKIP_1) | instid1(VALU_DEP_3)
	v_fma_f64 v[19:20], v[8:9], v[13:14], v[2:3]
	v_fma_f64 v[13:14], v[8:9], v[13:14], -v[2:3]
	v_fma_f64 v[21:22], v[0:1], 0.5, v[4:5]
	v_fma_f64 v[4:5], v[0:1], 0.5, -v[4:5]
	s_delay_alu instid0(VALU_DEP_4) | instskip(NEXT) | instid1(VALU_DEP_4)
	v_fma_f64 v[2:3], -v[11:12], v[6:7], v[19:20]
	v_fma_f64 v[6:7], -v[11:12], v[6:7], v[13:14]
	s_delay_alu instid0(VALU_DEP_4) | instskip(NEXT) | instid1(VALU_DEP_4)
	v_fma_f64 v[0:1], v[8:9], v[11:12], v[21:22]
	v_fma_f64 v[4:5], -v[8:9], v[11:12], v[4:5]
	v_lshlrev_b64 v[8:9], 4, v[50:51]
	s_delay_alu instid0(VALU_DEP_1) | instskip(NEXT) | instid1(VALU_DEP_1)
	v_add_co_u32 v8, s0, s1, v8
	v_add_co_ci_u32_e64 v9, s0, s2, v9, s0
	global_load_b128 v[11:14], v[8:9], off
	ds_store_b128 v168, v[0:3] offset:20736
	ds_store_b128 v10, v[4:7] offset:31104
	ds_load_b128 v[0:3], v168 offset:22464
	ds_load_b128 v[4:7], v10 offset:29376
	s_waitcnt lgkmcnt(0)
	v_add_f64 v[8:9], v[0:1], -v[4:5]
	v_add_f64 v[19:20], v[2:3], v[6:7]
	v_add_f64 v[2:3], v[2:3], -v[6:7]
	v_add_f64 v[0:1], v[0:1], v[4:5]
	s_delay_alu instid0(VALU_DEP_4) | instskip(NEXT) | instid1(VALU_DEP_4)
	v_mul_f64 v[6:7], v[8:9], 0.5
	v_mul_f64 v[8:9], v[19:20], 0.5
	s_delay_alu instid0(VALU_DEP_4) | instskip(SKIP_1) | instid1(VALU_DEP_3)
	v_mul_f64 v[2:3], v[2:3], 0.5
	s_waitcnt vmcnt(1)
	v_mul_f64 v[4:5], v[6:7], v[17:18]
	s_delay_alu instid0(VALU_DEP_2) | instskip(SKIP_1) | instid1(VALU_DEP_3)
	v_fma_f64 v[19:20], v[8:9], v[17:18], v[2:3]
	v_fma_f64 v[17:18], v[8:9], v[17:18], -v[2:3]
	v_fma_f64 v[21:22], v[0:1], 0.5, v[4:5]
	v_fma_f64 v[4:5], v[0:1], 0.5, -v[4:5]
	s_delay_alu instid0(VALU_DEP_4) | instskip(NEXT) | instid1(VALU_DEP_4)
	v_fma_f64 v[2:3], -v[15:16], v[6:7], v[19:20]
	v_fma_f64 v[6:7], -v[15:16], v[6:7], v[17:18]
	s_delay_alu instid0(VALU_DEP_4) | instskip(NEXT) | instid1(VALU_DEP_4)
	v_fma_f64 v[0:1], v[8:9], v[15:16], v[21:22]
	v_fma_f64 v[4:5], -v[8:9], v[15:16], v[4:5]
	ds_store_b128 v168, v[0:3] offset:22464
	ds_store_b128 v10, v[4:7] offset:29376
	ds_load_b128 v[0:3], v168 offset:24192
	ds_load_b128 v[4:7], v10 offset:27648
	s_waitcnt lgkmcnt(0)
	v_add_f64 v[8:9], v[0:1], -v[4:5]
	v_add_f64 v[15:16], v[2:3], v[6:7]
	v_add_f64 v[2:3], v[2:3], -v[6:7]
	v_add_f64 v[0:1], v[0:1], v[4:5]
	s_delay_alu instid0(VALU_DEP_4) | instskip(NEXT) | instid1(VALU_DEP_4)
	v_mul_f64 v[6:7], v[8:9], 0.5
	v_mul_f64 v[8:9], v[15:16], 0.5
	s_delay_alu instid0(VALU_DEP_4) | instskip(SKIP_1) | instid1(VALU_DEP_3)
	v_mul_f64 v[2:3], v[2:3], 0.5
	s_waitcnt vmcnt(0)
	v_mul_f64 v[4:5], v[6:7], v[13:14]
	s_delay_alu instid0(VALU_DEP_2) | instskip(SKIP_1) | instid1(VALU_DEP_3)
	v_fma_f64 v[15:16], v[8:9], v[13:14], v[2:3]
	v_fma_f64 v[13:14], v[8:9], v[13:14], -v[2:3]
	v_fma_f64 v[17:18], v[0:1], 0.5, v[4:5]
	v_fma_f64 v[4:5], v[0:1], 0.5, -v[4:5]
	s_delay_alu instid0(VALU_DEP_4) | instskip(NEXT) | instid1(VALU_DEP_4)
	v_fma_f64 v[2:3], -v[11:12], v[6:7], v[15:16]
	v_fma_f64 v[6:7], -v[11:12], v[6:7], v[13:14]
	s_delay_alu instid0(VALU_DEP_4) | instskip(NEXT) | instid1(VALU_DEP_4)
	v_fma_f64 v[0:1], v[8:9], v[11:12], v[17:18]
	v_fma_f64 v[4:5], -v[8:9], v[11:12], v[4:5]
	ds_store_b128 v168, v[0:3] offset:24192
	ds_store_b128 v10, v[4:7] offset:27648
	s_waitcnt lgkmcnt(0)
	s_barrier
	buffer_gl0_inv
	s_and_saveexec_b32 s0, vcc_lo
	s_cbranch_execz .LBB0_20
; %bb.18:
	v_mov_b32_e32 v49, v51
	ds_load_b128 v[2:5], v168
	v_add_co_u32 v0, vcc_lo, s8, v52
	ds_load_b128 v[6:9], v168 offset:1728
	ds_load_b128 v[10:13], v168 offset:3456
	;; [unrolled: 1-line block ×7, first 2 shown]
	v_lshlrev_b64 v[34:35], 4, v[48:49]
	v_add_co_ci_u32_e32 v1, vcc_lo, s9, v53, vcc_lo
	s_delay_alu instid0(VALU_DEP_2) | instskip(NEXT) | instid1(VALU_DEP_2)
	v_add_co_u32 v46, vcc_lo, v0, v34
	v_add_co_ci_u32_e32 v47, vcc_lo, v1, v35, vcc_lo
	ds_load_b128 v[34:37], v168 offset:50112
	v_add_co_u32 v38, vcc_lo, 0x1000, v46
	v_add_co_ci_u32_e32 v39, vcc_lo, 0, v47, vcc_lo
	v_add_co_u32 v40, vcc_lo, 0x2000, v46
	v_add_co_ci_u32_e32 v41, vcc_lo, 0, v47, vcc_lo
	s_waitcnt lgkmcnt(8)
	global_store_b128 v[46:47], v[2:5], off
	s_waitcnt lgkmcnt(7)
	global_store_b128 v[46:47], v[6:9], off offset:1728
	s_waitcnt lgkmcnt(6)
	global_store_b128 v[46:47], v[10:13], off offset:3456
	;; [unrolled: 2-line block ×5, first 2 shown]
	ds_load_b128 v[2:5], v168 offset:13824
	s_waitcnt lgkmcnt(3)
	global_store_b128 v[40:41], v[26:29], off offset:2176
	s_waitcnt lgkmcnt(2)
	global_store_b128 v[40:41], v[30:33], off offset:3904
	ds_load_b128 v[6:9], v168 offset:15552
	ds_load_b128 v[10:13], v168 offset:17280
	;; [unrolled: 1-line block ×7, first 2 shown]
	v_add_co_u32 v38, vcc_lo, 0x3000, v46
	v_add_co_ci_u32_e32 v39, vcc_lo, 0, v47, vcc_lo
	v_add_co_u32 v40, vcc_lo, 0x4000, v46
	v_add_co_ci_u32_e32 v41, vcc_lo, 0, v47, vcc_lo
	;; [unrolled: 2-line block ×4, first 2 shown]
	v_add_co_u32 v51, vcc_lo, 0x7000, v46
	s_waitcnt lgkmcnt(7)
	global_store_b128 v[38:39], v[2:5], off offset:1536
	s_waitcnt lgkmcnt(6)
	global_store_b128 v[38:39], v[6:9], off offset:3264
	;; [unrolled: 2-line block ×6, first 2 shown]
	ds_load_b128 v[2:5], v168 offset:27648
	ds_load_b128 v[6:9], v168 offset:29376
	;; [unrolled: 1-line block ×4, first 2 shown]
	s_waitcnt lgkmcnt(5)
	global_store_b128 v[42:43], v[26:29], off offset:3712
	s_waitcnt lgkmcnt(4)
	global_store_b128 v[49:50], v[30:33], off offset:1344
	ds_load_b128 v[18:21], v168 offset:34560
	ds_load_b128 v[22:25], v168 offset:36288
	;; [unrolled: 1-line block ×6, first 2 shown]
	v_add_co_ci_u32_e32 v52, vcc_lo, 0, v47, vcc_lo
	v_add_co_u32 v53, vcc_lo, 0x8000, v46
	v_add_co_ci_u32_e32 v54, vcc_lo, 0, v47, vcc_lo
	s_waitcnt lgkmcnt(9)
	global_store_b128 v[49:50], v[2:5], off offset:3072
	s_waitcnt lgkmcnt(8)
	global_store_b128 v[51:52], v[6:9], off offset:704
	;; [unrolled: 2-line block ×4, first 2 shown]
	ds_load_b128 v[2:5], v168 offset:44928
	ds_load_b128 v[6:9], v168 offset:46656
	;; [unrolled: 1-line block ×3, first 2 shown]
	v_add_co_u32 v14, vcc_lo, 0x9000, v46
	v_add_co_ci_u32_e32 v15, vcc_lo, 0, v47, vcc_lo
	v_add_co_u32 v16, vcc_lo, 0xa000, v46
	v_add_co_ci_u32_e32 v17, vcc_lo, 0, v47, vcc_lo
	s_waitcnt lgkmcnt(8)
	global_store_b128 v[53:54], v[18:21], off offset:1792
	s_waitcnt lgkmcnt(7)
	global_store_b128 v[53:54], v[22:25], off offset:3520
	;; [unrolled: 2-line block ×6, first 2 shown]
	v_add_co_u32 v14, vcc_lo, 0xb000, v46
	v_add_co_ci_u32_e32 v15, vcc_lo, 0, v47, vcc_lo
	v_add_co_u32 v18, vcc_lo, 0xc000, v46
	v_add_co_ci_u32_e32 v19, vcc_lo, 0, v47, vcc_lo
	v_cmp_eq_u32_e32 vcc_lo, 0x6b, v48
	s_waitcnt lgkmcnt(2)
	global_store_b128 v[16:17], v[2:5], off offset:3968
	s_waitcnt lgkmcnt(1)
	global_store_b128 v[14:15], v[6:9], off offset:1600
	s_waitcnt lgkmcnt(0)
	s_clause 0x1
	global_store_b128 v[14:15], v[10:13], off offset:3328
	global_store_b128 v[18:19], v[34:37], off offset:960
	s_and_b32 exec_lo, exec_lo, vcc_lo
	s_cbranch_execz .LBB0_20
; %bb.19:
	v_mov_b32_e32 v2, 0
	v_add_co_u32 v0, vcc_lo, 0xc000, v0
	v_add_co_ci_u32_e32 v1, vcc_lo, 0, v1, vcc_lo
	ds_load_b128 v[2:5], v2 offset:51840
	s_waitcnt lgkmcnt(0)
	global_store_b128 v[0:1], v[2:5], off offset:2688
.LBB0_20:
	s_nop 0
	s_sendmsg sendmsg(MSG_DEALLOC_VGPRS)
	s_endpgm
	.section	.rodata,"a",@progbits
	.p2align	6, 0x0
	.amdhsa_kernel fft_rtc_back_len3240_factors_3_3_10_6_6_wgs_108_tpt_108_halfLds_dp_ip_CI_unitstride_sbrr_R2C_dirReg
		.amdhsa_group_segment_fixed_size 0
		.amdhsa_private_segment_fixed_size 0
		.amdhsa_kernarg_size 88
		.amdhsa_user_sgpr_count 15
		.amdhsa_user_sgpr_dispatch_ptr 0
		.amdhsa_user_sgpr_queue_ptr 0
		.amdhsa_user_sgpr_kernarg_segment_ptr 1
		.amdhsa_user_sgpr_dispatch_id 0
		.amdhsa_user_sgpr_private_segment_size 0
		.amdhsa_wavefront_size32 1
		.amdhsa_uses_dynamic_stack 0
		.amdhsa_enable_private_segment 0
		.amdhsa_system_sgpr_workgroup_id_x 1
		.amdhsa_system_sgpr_workgroup_id_y 0
		.amdhsa_system_sgpr_workgroup_id_z 0
		.amdhsa_system_sgpr_workgroup_info 0
		.amdhsa_system_vgpr_workitem_id 0
		.amdhsa_next_free_vgpr 211
		.amdhsa_next_free_sgpr 24
		.amdhsa_reserve_vcc 1
		.amdhsa_float_round_mode_32 0
		.amdhsa_float_round_mode_16_64 0
		.amdhsa_float_denorm_mode_32 3
		.amdhsa_float_denorm_mode_16_64 3
		.amdhsa_dx10_clamp 1
		.amdhsa_ieee_mode 1
		.amdhsa_fp16_overflow 0
		.amdhsa_workgroup_processor_mode 1
		.amdhsa_memory_ordered 1
		.amdhsa_forward_progress 0
		.amdhsa_shared_vgpr_count 0
		.amdhsa_exception_fp_ieee_invalid_op 0
		.amdhsa_exception_fp_denorm_src 0
		.amdhsa_exception_fp_ieee_div_zero 0
		.amdhsa_exception_fp_ieee_overflow 0
		.amdhsa_exception_fp_ieee_underflow 0
		.amdhsa_exception_fp_ieee_inexact 0
		.amdhsa_exception_int_div_zero 0
	.end_amdhsa_kernel
	.text
.Lfunc_end0:
	.size	fft_rtc_back_len3240_factors_3_3_10_6_6_wgs_108_tpt_108_halfLds_dp_ip_CI_unitstride_sbrr_R2C_dirReg, .Lfunc_end0-fft_rtc_back_len3240_factors_3_3_10_6_6_wgs_108_tpt_108_halfLds_dp_ip_CI_unitstride_sbrr_R2C_dirReg
                                        ; -- End function
	.section	.AMDGPU.csdata,"",@progbits
; Kernel info:
; codeLenInByte = 27104
; NumSgprs: 26
; NumVgprs: 211
; ScratchSize: 0
; MemoryBound: 0
; FloatMode: 240
; IeeeMode: 1
; LDSByteSize: 0 bytes/workgroup (compile time only)
; SGPRBlocks: 3
; VGPRBlocks: 26
; NumSGPRsForWavesPerEU: 26
; NumVGPRsForWavesPerEU: 211
; Occupancy: 7
; WaveLimiterHint : 1
; COMPUTE_PGM_RSRC2:SCRATCH_EN: 0
; COMPUTE_PGM_RSRC2:USER_SGPR: 15
; COMPUTE_PGM_RSRC2:TRAP_HANDLER: 0
; COMPUTE_PGM_RSRC2:TGID_X_EN: 1
; COMPUTE_PGM_RSRC2:TGID_Y_EN: 0
; COMPUTE_PGM_RSRC2:TGID_Z_EN: 0
; COMPUTE_PGM_RSRC2:TIDIG_COMP_CNT: 0
	.text
	.p2alignl 7, 3214868480
	.fill 96, 4, 3214868480
	.type	__hip_cuid_170ba28ad13a1bec,@object ; @__hip_cuid_170ba28ad13a1bec
	.section	.bss,"aw",@nobits
	.globl	__hip_cuid_170ba28ad13a1bec
__hip_cuid_170ba28ad13a1bec:
	.byte	0                               ; 0x0
	.size	__hip_cuid_170ba28ad13a1bec, 1

	.ident	"AMD clang version 19.0.0git (https://github.com/RadeonOpenCompute/llvm-project roc-6.4.0 25133 c7fe45cf4b819c5991fe208aaa96edf142730f1d)"
	.section	".note.GNU-stack","",@progbits
	.addrsig
	.addrsig_sym __hip_cuid_170ba28ad13a1bec
	.amdgpu_metadata
---
amdhsa.kernels:
  - .args:
      - .actual_access:  read_only
        .address_space:  global
        .offset:         0
        .size:           8
        .value_kind:     global_buffer
      - .offset:         8
        .size:           8
        .value_kind:     by_value
      - .actual_access:  read_only
        .address_space:  global
        .offset:         16
        .size:           8
        .value_kind:     global_buffer
      - .actual_access:  read_only
        .address_space:  global
        .offset:         24
        .size:           8
        .value_kind:     global_buffer
      - .offset:         32
        .size:           8
        .value_kind:     by_value
      - .actual_access:  read_only
        .address_space:  global
        .offset:         40
        .size:           8
        .value_kind:     global_buffer
      - .actual_access:  read_only
        .address_space:  global
        .offset:         48
        .size:           8
        .value_kind:     global_buffer
      - .offset:         56
        .size:           4
        .value_kind:     by_value
      - .actual_access:  read_only
        .address_space:  global
        .offset:         64
        .size:           8
        .value_kind:     global_buffer
      - .actual_access:  read_only
        .address_space:  global
        .offset:         72
        .size:           8
        .value_kind:     global_buffer
      - .address_space:  global
        .offset:         80
        .size:           8
        .value_kind:     global_buffer
    .group_segment_fixed_size: 0
    .kernarg_segment_align: 8
    .kernarg_segment_size: 88
    .language:       OpenCL C
    .language_version:
      - 2
      - 0
    .max_flat_workgroup_size: 108
    .name:           fft_rtc_back_len3240_factors_3_3_10_6_6_wgs_108_tpt_108_halfLds_dp_ip_CI_unitstride_sbrr_R2C_dirReg
    .private_segment_fixed_size: 0
    .sgpr_count:     26
    .sgpr_spill_count: 0
    .symbol:         fft_rtc_back_len3240_factors_3_3_10_6_6_wgs_108_tpt_108_halfLds_dp_ip_CI_unitstride_sbrr_R2C_dirReg.kd
    .uniform_work_group_size: 1
    .uses_dynamic_stack: false
    .vgpr_count:     211
    .vgpr_spill_count: 0
    .wavefront_size: 32
    .workgroup_processor_mode: 1
amdhsa.target:   amdgcn-amd-amdhsa--gfx1100
amdhsa.version:
  - 1
  - 2
...

	.end_amdgpu_metadata
